;; amdgpu-corpus repo=ROCm/rocFFT kind=compiled arch=gfx1030 opt=O3
	.text
	.amdgcn_target "amdgcn-amd-amdhsa--gfx1030"
	.amdhsa_code_object_version 6
	.protected	fft_rtc_fwd_len1650_factors_11_2_3_5_5_wgs_110_tpt_110_halfLds_dp_ip_CI_unitstride_sbrr_R2C_dirReg ; -- Begin function fft_rtc_fwd_len1650_factors_11_2_3_5_5_wgs_110_tpt_110_halfLds_dp_ip_CI_unitstride_sbrr_R2C_dirReg
	.globl	fft_rtc_fwd_len1650_factors_11_2_3_5_5_wgs_110_tpt_110_halfLds_dp_ip_CI_unitstride_sbrr_R2C_dirReg
	.p2align	8
	.type	fft_rtc_fwd_len1650_factors_11_2_3_5_5_wgs_110_tpt_110_halfLds_dp_ip_CI_unitstride_sbrr_R2C_dirReg,@function
fft_rtc_fwd_len1650_factors_11_2_3_5_5_wgs_110_tpt_110_halfLds_dp_ip_CI_unitstride_sbrr_R2C_dirReg: ; @fft_rtc_fwd_len1650_factors_11_2_3_5_5_wgs_110_tpt_110_halfLds_dp_ip_CI_unitstride_sbrr_R2C_dirReg
; %bb.0:
	s_clause 0x2
	s_load_dwordx4 s[8:11], s[4:5], 0x0
	s_load_dwordx2 s[2:3], s[4:5], 0x50
	s_load_dwordx2 s[12:13], s[4:5], 0x18
	v_mul_u32_u24_e32 v1, 0x254, v0
	v_mov_b32_e32 v3, 0
	v_add_nc_u32_sdwa v5, s6, v1 dst_sel:DWORD dst_unused:UNUSED_PAD src0_sel:DWORD src1_sel:WORD_1
	v_mov_b32_e32 v1, 0
	v_mov_b32_e32 v6, v3
	v_mov_b32_e32 v2, 0
	s_waitcnt lgkmcnt(0)
	v_cmp_lt_u64_e64 s0, s[10:11], 2
	s_and_b32 vcc_lo, exec_lo, s0
	s_cbranch_vccnz .LBB0_8
; %bb.1:
	s_load_dwordx2 s[0:1], s[4:5], 0x10
	v_mov_b32_e32 v1, 0
	s_add_u32 s6, s12, 8
	v_mov_b32_e32 v2, 0
	s_addc_u32 s7, s13, 0
	s_mov_b64 s[16:17], 1
	s_waitcnt lgkmcnt(0)
	s_add_u32 s14, s0, 8
	s_addc_u32 s15, s1, 0
.LBB0_2:                                ; =>This Inner Loop Header: Depth=1
	s_load_dwordx2 s[18:19], s[14:15], 0x0
                                        ; implicit-def: $vgpr7_vgpr8
	s_mov_b32 s0, exec_lo
	s_waitcnt lgkmcnt(0)
	v_or_b32_e32 v4, s19, v6
	v_cmpx_ne_u64_e32 0, v[3:4]
	s_xor_b32 s1, exec_lo, s0
	s_cbranch_execz .LBB0_4
; %bb.3:                                ;   in Loop: Header=BB0_2 Depth=1
	v_cvt_f32_u32_e32 v4, s18
	v_cvt_f32_u32_e32 v7, s19
	s_sub_u32 s0, 0, s18
	s_subb_u32 s20, 0, s19
	v_fmac_f32_e32 v4, 0x4f800000, v7
	v_rcp_f32_e32 v4, v4
	v_mul_f32_e32 v4, 0x5f7ffffc, v4
	v_mul_f32_e32 v7, 0x2f800000, v4
	v_trunc_f32_e32 v7, v7
	v_fmac_f32_e32 v4, 0xcf800000, v7
	v_cvt_u32_f32_e32 v7, v7
	v_cvt_u32_f32_e32 v4, v4
	v_mul_lo_u32 v8, s0, v7
	v_mul_hi_u32 v9, s0, v4
	v_mul_lo_u32 v10, s20, v4
	v_add_nc_u32_e32 v8, v9, v8
	v_mul_lo_u32 v9, s0, v4
	v_add_nc_u32_e32 v8, v8, v10
	v_mul_hi_u32 v10, v4, v9
	v_mul_lo_u32 v11, v4, v8
	v_mul_hi_u32 v12, v4, v8
	v_mul_hi_u32 v13, v7, v9
	v_mul_lo_u32 v9, v7, v9
	v_mul_hi_u32 v14, v7, v8
	v_mul_lo_u32 v8, v7, v8
	v_add_co_u32 v10, vcc_lo, v10, v11
	v_add_co_ci_u32_e32 v11, vcc_lo, 0, v12, vcc_lo
	v_add_co_u32 v9, vcc_lo, v10, v9
	v_add_co_ci_u32_e32 v9, vcc_lo, v11, v13, vcc_lo
	v_add_co_ci_u32_e32 v10, vcc_lo, 0, v14, vcc_lo
	v_add_co_u32 v8, vcc_lo, v9, v8
	v_add_co_ci_u32_e32 v9, vcc_lo, 0, v10, vcc_lo
	v_add_co_u32 v4, vcc_lo, v4, v8
	v_add_co_ci_u32_e32 v7, vcc_lo, v7, v9, vcc_lo
	v_mul_hi_u32 v8, s0, v4
	v_mul_lo_u32 v10, s20, v4
	v_mul_lo_u32 v9, s0, v7
	v_add_nc_u32_e32 v8, v8, v9
	v_mul_lo_u32 v9, s0, v4
	v_add_nc_u32_e32 v8, v8, v10
	v_mul_hi_u32 v10, v4, v9
	v_mul_lo_u32 v11, v4, v8
	v_mul_hi_u32 v12, v4, v8
	v_mul_hi_u32 v13, v7, v9
	v_mul_lo_u32 v9, v7, v9
	v_mul_hi_u32 v14, v7, v8
	v_mul_lo_u32 v8, v7, v8
	v_add_co_u32 v10, vcc_lo, v10, v11
	v_add_co_ci_u32_e32 v11, vcc_lo, 0, v12, vcc_lo
	v_add_co_u32 v9, vcc_lo, v10, v9
	v_add_co_ci_u32_e32 v9, vcc_lo, v11, v13, vcc_lo
	v_add_co_ci_u32_e32 v10, vcc_lo, 0, v14, vcc_lo
	v_add_co_u32 v8, vcc_lo, v9, v8
	v_add_co_ci_u32_e32 v9, vcc_lo, 0, v10, vcc_lo
	v_add_co_u32 v4, vcc_lo, v4, v8
	v_add_co_ci_u32_e32 v11, vcc_lo, v7, v9, vcc_lo
	v_mul_hi_u32 v13, v5, v4
	v_mad_u64_u32 v[9:10], null, v6, v4, 0
	v_mad_u64_u32 v[7:8], null, v5, v11, 0
	;; [unrolled: 1-line block ×3, first 2 shown]
	v_add_co_u32 v4, vcc_lo, v13, v7
	v_add_co_ci_u32_e32 v7, vcc_lo, 0, v8, vcc_lo
	v_add_co_u32 v4, vcc_lo, v4, v9
	v_add_co_ci_u32_e32 v4, vcc_lo, v7, v10, vcc_lo
	v_add_co_ci_u32_e32 v7, vcc_lo, 0, v12, vcc_lo
	v_add_co_u32 v4, vcc_lo, v4, v11
	v_add_co_ci_u32_e32 v9, vcc_lo, 0, v7, vcc_lo
	v_mul_lo_u32 v10, s19, v4
	v_mad_u64_u32 v[7:8], null, s18, v4, 0
	v_mul_lo_u32 v11, s18, v9
	v_sub_co_u32 v7, vcc_lo, v5, v7
	v_add3_u32 v8, v8, v11, v10
	v_sub_nc_u32_e32 v10, v6, v8
	v_subrev_co_ci_u32_e64 v10, s0, s19, v10, vcc_lo
	v_add_co_u32 v11, s0, v4, 2
	v_add_co_ci_u32_e64 v12, s0, 0, v9, s0
	v_sub_co_u32 v13, s0, v7, s18
	v_sub_co_ci_u32_e32 v8, vcc_lo, v6, v8, vcc_lo
	v_subrev_co_ci_u32_e64 v10, s0, 0, v10, s0
	v_cmp_le_u32_e32 vcc_lo, s18, v13
	v_cmp_eq_u32_e64 s0, s19, v8
	v_cndmask_b32_e64 v13, 0, -1, vcc_lo
	v_cmp_le_u32_e32 vcc_lo, s19, v10
	v_cndmask_b32_e64 v14, 0, -1, vcc_lo
	v_cmp_le_u32_e32 vcc_lo, s18, v7
	;; [unrolled: 2-line block ×3, first 2 shown]
	v_cndmask_b32_e64 v15, 0, -1, vcc_lo
	v_cmp_eq_u32_e32 vcc_lo, s19, v10
	v_cndmask_b32_e64 v7, v15, v7, s0
	v_cndmask_b32_e32 v10, v14, v13, vcc_lo
	v_add_co_u32 v13, vcc_lo, v4, 1
	v_add_co_ci_u32_e32 v14, vcc_lo, 0, v9, vcc_lo
	v_cmp_ne_u32_e32 vcc_lo, 0, v10
	v_cndmask_b32_e32 v8, v14, v12, vcc_lo
	v_cndmask_b32_e32 v10, v13, v11, vcc_lo
	v_cmp_ne_u32_e32 vcc_lo, 0, v7
	v_cndmask_b32_e32 v8, v9, v8, vcc_lo
	v_cndmask_b32_e32 v7, v4, v10, vcc_lo
.LBB0_4:                                ;   in Loop: Header=BB0_2 Depth=1
	s_andn2_saveexec_b32 s0, s1
	s_cbranch_execz .LBB0_6
; %bb.5:                                ;   in Loop: Header=BB0_2 Depth=1
	v_cvt_f32_u32_e32 v4, s18
	s_sub_i32 s1, 0, s18
	v_rcp_iflag_f32_e32 v4, v4
	v_mul_f32_e32 v4, 0x4f7ffffe, v4
	v_cvt_u32_f32_e32 v4, v4
	v_mul_lo_u32 v7, s1, v4
	v_mul_hi_u32 v7, v4, v7
	v_add_nc_u32_e32 v4, v4, v7
	v_mul_hi_u32 v4, v5, v4
	v_mul_lo_u32 v7, v4, s18
	v_add_nc_u32_e32 v8, 1, v4
	v_sub_nc_u32_e32 v7, v5, v7
	v_subrev_nc_u32_e32 v9, s18, v7
	v_cmp_le_u32_e32 vcc_lo, s18, v7
	v_cndmask_b32_e32 v7, v7, v9, vcc_lo
	v_cndmask_b32_e32 v4, v4, v8, vcc_lo
	v_cmp_le_u32_e32 vcc_lo, s18, v7
	v_add_nc_u32_e32 v8, 1, v4
	v_cndmask_b32_e32 v7, v4, v8, vcc_lo
	v_mov_b32_e32 v8, v3
.LBB0_6:                                ;   in Loop: Header=BB0_2 Depth=1
	s_or_b32 exec_lo, exec_lo, s0
	s_load_dwordx2 s[0:1], s[6:7], 0x0
	v_mul_lo_u32 v4, v8, s18
	v_mul_lo_u32 v11, v7, s19
	v_mad_u64_u32 v[9:10], null, v7, s18, 0
	s_add_u32 s16, s16, 1
	s_addc_u32 s17, s17, 0
	s_add_u32 s6, s6, 8
	s_addc_u32 s7, s7, 0
	;; [unrolled: 2-line block ×3, first 2 shown]
	v_add3_u32 v4, v10, v11, v4
	v_sub_co_u32 v5, vcc_lo, v5, v9
	v_sub_co_ci_u32_e32 v4, vcc_lo, v6, v4, vcc_lo
	s_waitcnt lgkmcnt(0)
	v_mul_lo_u32 v6, s1, v5
	v_mul_lo_u32 v4, s0, v4
	v_mad_u64_u32 v[1:2], null, s0, v5, v[1:2]
	v_cmp_ge_u64_e64 s0, s[16:17], s[10:11]
	s_and_b32 vcc_lo, exec_lo, s0
	v_add3_u32 v2, v6, v2, v4
	s_cbranch_vccnz .LBB0_9
; %bb.7:                                ;   in Loop: Header=BB0_2 Depth=1
	v_mov_b32_e32 v5, v7
	v_mov_b32_e32 v6, v8
	s_branch .LBB0_2
.LBB0_8:
	v_mov_b32_e32 v8, v6
	v_mov_b32_e32 v7, v5
.LBB0_9:
	s_lshl_b64 s[0:1], s[10:11], 3
	v_mul_hi_u32 v3, 0x253c826, v0
	s_add_u32 s0, s12, s0
	s_addc_u32 s1, s13, s1
	s_load_dwordx2 s[0:1], s[0:1], 0x0
	s_load_dwordx2 s[4:5], s[4:5], 0x20
	v_mul_u32_u24_e32 v3, 0x6e, v3
	v_sub_nc_u32_e32 v100, v0, v3
	v_add_nc_u32_e32 v104, 0x6e, v100
	s_waitcnt lgkmcnt(0)
	v_mul_lo_u32 v4, s0, v8
	v_mul_lo_u32 v5, s1, v7
	v_mad_u64_u32 v[1:2], null, s0, v7, v[1:2]
	v_cmp_gt_u64_e32 vcc_lo, s[4:5], v[7:8]
	v_cmp_le_u64_e64 s0, s[4:5], v[7:8]
	v_add3_u32 v2, v5, v2, v4
	s_and_saveexec_b32 s1, s0
	s_xor_b32 s0, exec_lo, s1
; %bb.10:
	v_add_nc_u32_e32 v104, 0x6e, v100
; %bb.11:
	s_or_saveexec_b32 s1, s0
	v_lshlrev_b64 v[102:103], 4, v[1:2]
	v_lshl_add_u32 v149, v100, 4, 0
	s_xor_b32 exec_lo, exec_lo, s1
	s_cbranch_execz .LBB0_13
; %bb.12:
	v_mov_b32_e32 v101, 0
	v_add_co_u32 v2, s0, s2, v102
	v_add_co_ci_u32_e64 v3, s0, s3, v103, s0
	v_lshlrev_b64 v[0:1], 4, v[100:101]
	v_add_co_u32 v8, s0, v2, v0
	v_add_co_ci_u32_e64 v9, s0, v3, v1, s0
	s_clause 0x1
	global_load_dwordx4 v[0:3], v[8:9], off
	global_load_dwordx4 v[4:7], v[8:9], off offset:1760
	v_add_co_u32 v10, s0, 0x800, v8
	v_add_co_ci_u32_e64 v11, s0, 0, v9, s0
	v_add_co_u32 v12, s0, 0x1000, v8
	v_add_co_ci_u32_e64 v13, s0, 0, v9, s0
	;; [unrolled: 2-line block ×12, first 2 shown]
	s_clause 0xc
	global_load_dwordx4 v[8:11], v[10:11], off offset:1472
	global_load_dwordx4 v[12:15], v[12:13], off offset:1184
	;; [unrolled: 1-line block ×13, first 2 shown]
	s_waitcnt vmcnt(14)
	ds_write_b128 v149, v[0:3]
	s_waitcnt vmcnt(13)
	ds_write_b128 v149, v[4:7] offset:1760
	s_waitcnt vmcnt(12)
	ds_write_b128 v149, v[8:11] offset:3520
	;; [unrolled: 2-line block ×14, first 2 shown]
.LBB0_13:
	s_or_b32 exec_lo, exec_lo, s1
	s_waitcnt lgkmcnt(0)
	s_barrier
	buffer_gl0_inv
	ds_read_b128 v[48:51], v149 offset:2400
	ds_read_b128 v[44:47], v149
	ds_read_b128 v[0:3], v149 offset:1760
	ds_read_b128 v[16:19], v149 offset:4160
	ds_read_b128 v[56:59], v149 offset:4800
	ds_read_b128 v[24:27], v149 offset:6560
	ds_read_b128 v[60:63], v149 offset:7200
	ds_read_b128 v[20:23], v149 offset:8960
	ds_read_b128 v[64:67], v149 offset:9600
	ds_read_b128 v[12:15], v149 offset:11360
	s_mov_b32 s4, 0xf8bb580b
	s_mov_b32 s5, 0xbfe14ced
	;; [unrolled: 1-line block ×16, first 2 shown]
	s_waitcnt lgkmcnt(8)
	v_add_f64 v[4:5], v[44:45], v[48:49]
	v_add_f64 v[6:7], v[46:47], v[50:51]
	s_mov_b32 s27, 0x3fd207e7
	s_mov_b32 s26, s12
	;; [unrolled: 1-line block ×12, first 2 shown]
	v_mad_u32_u24 v101, 0xa0, v100, v149
	s_mov_b32 s33, exec_lo
	s_waitcnt lgkmcnt(5)
	v_add_f64 v[72:73], v[4:5], v[56:57]
	v_add_f64 v[74:75], v[6:7], v[58:59]
	ds_read_b128 v[68:71], v149 offset:12000
	ds_read_b128 v[8:11], v149 offset:13760
	;; [unrolled: 1-line block ×12, first 2 shown]
	s_waitcnt lgkmcnt(0)
	s_barrier
	buffer_gl0_inv
	v_add_f64 v[80:81], v[68:69], -v[52:53]
	v_add_f64 v[82:83], v[70:71], -v[54:55]
	v_add_f64 v[78:79], v[66:67], v[107:108]
	v_add_f64 v[96:97], v[66:67], -v[107:108]
	v_add_f64 v[98:99], v[60:61], -v[109:110]
	;; [unrolled: 1-line block ×6, first 2 shown]
	v_add_f64 v[72:73], v[72:73], v[60:61]
	v_add_f64 v[74:75], v[74:75], v[62:63]
	v_add_f64 v[88:89], v[48:49], -v[117:118]
	v_add_f64 v[127:128], v[48:49], v[117:118]
	v_add_f64 v[129:130], v[50:51], v[119:120]
	;; [unrolled: 1-line block ×4, first 2 shown]
	v_add_f64 v[86:87], v[64:65], -v[105:106]
	v_add_f64 v[50:51], v[62:63], v[111:112]
	v_mul_f64 v[160:161], v[80:81], s[12:13]
	v_mul_f64 v[158:159], v[82:83], s[12:13]
	;; [unrolled: 1-line block ×8, first 2 shown]
	v_add_f64 v[90:91], v[72:73], v[64:65]
	v_add_f64 v[92:93], v[74:75], v[66:67]
	v_mul_f64 v[131:132], v[88:89], s[4:5]
	v_add_f64 v[66:67], v[56:57], v[113:114]
	v_add_f64 v[72:73], v[68:69], v[52:53]
	;; [unrolled: 1-line block ×3, first 2 shown]
	v_mul_f64 v[62:63], v[84:85], s[14:15]
	v_mul_f64 v[64:65], v[84:85], s[18:19]
	;; [unrolled: 1-line block ×14, first 2 shown]
	v_fma_f64 v[145:146], v[127:128], s[6:7], -v[94:95]
	v_add_f64 v[56:57], v[90:91], v[68:69]
	v_add_f64 v[60:61], v[92:93], v[70:71]
	;; [unrolled: 1-line block ×3, first 2 shown]
	v_fma_f64 v[150:151], v[129:130], s[6:7], v[131:132]
	v_fma_f64 v[156:157], v[127:128], s[6:7], v[94:95]
	v_mul_f64 v[58:59], v[84:85], s[24:25]
	v_mul_f64 v[70:71], v[84:85], s[12:13]
	;; [unrolled: 1-line block ×3, first 2 shown]
	v_fma_f64 v[170:171], v[66:67], s[22:23], -v[139:140]
	v_fma_f64 v[139:140], v[66:67], s[22:23], v[139:140]
	v_fma_f64 v[186:187], v[127:128], s[20:21], -v[62:63]
	v_mul_f64 v[92:93], v[121:122], s[26:27]
	v_mul_f64 v[94:95], v[98:99], s[26:27]
	v_fma_f64 v[62:63], v[127:128], s[20:21], v[62:63]
	v_fma_f64 v[188:189], v[66:67], s[16:17], -v[162:163]
	v_mul_f64 v[88:89], v[96:97], s[30:31]
	v_mul_f64 v[90:91], v[86:87], s[30:31]
	;; [unrolled: 1-line block ×4, first 2 shown]
	v_add_f64 v[145:146], v[44:45], v[145:146]
	v_add_f64 v[52:53], v[56:57], v[52:53]
	;; [unrolled: 1-line block ×3, first 2 shown]
	v_fma_f64 v[60:61], v[129:130], s[6:7], -v[131:132]
	v_fma_f64 v[172:173], v[68:69], s[22:23], v[141:142]
	v_add_f64 v[150:151], v[46:47], v[150:151]
	v_add_f64 v[156:157], v[44:45], v[156:157]
	v_mul_f64 v[56:57], v[123:124], s[26:27]
	v_mul_f64 v[131:132], v[125:126], s[26:27]
	v_fma_f64 v[168:169], v[127:128], s[22:23], -v[58:59]
	v_fma_f64 v[184:185], v[129:130], s[22:23], v[84:85]
	v_fma_f64 v[141:142], v[68:69], s[22:23], -v[141:142]
	v_fma_f64 v[58:59], v[127:128], s[22:23], v[58:59]
	v_fma_f64 v[84:85], v[129:130], s[22:23], -v[84:85]
	v_add_f64 v[194:195], v[44:45], v[62:63]
	v_add_f64 v[145:146], v[170:171], v[145:146]
	;; [unrolled: 1-line block ×5, first 2 shown]
	v_fma_f64 v[170:171], v[48:49], s[20:21], -v[143:144]
	v_add_f64 v[150:151], v[172:173], v[150:151]
	v_fma_f64 v[172:173], v[50:51], s[20:21], v[147:148]
	v_fma_f64 v[143:144], v[48:49], s[20:21], v[143:144]
	v_add_f64 v[139:140], v[139:140], v[156:157]
	v_mul_f64 v[105:106], v[123:124], s[30:31]
	v_mul_f64 v[107:108], v[125:126], s[30:31]
	v_add_f64 v[168:169], v[44:45], v[168:169]
	v_fma_f64 v[156:157], v[127:128], s[16:17], -v[64:65]
	v_fma_f64 v[64:65], v[127:128], s[16:17], v[64:65]
	v_add_f64 v[184:185], v[46:47], v[184:185]
	v_fma_f64 v[147:148], v[50:51], s[20:21], -v[147:148]
	v_fma_f64 v[190:191], v[66:67], s[10:11], v[56:57]
	v_add_f64 v[198:199], v[46:47], v[84:85]
	v_add_f64 v[196:197], v[44:45], v[58:59]
	v_mul_f64 v[123:124], v[123:124], s[28:29]
	v_mul_f64 v[125:126], v[125:126], s[28:29]
	v_add_f64 v[52:53], v[52:53], v[109:110]
	v_add_f64 v[54:55], v[54:55], v[111:112]
	v_fma_f64 v[111:112], v[129:130], s[20:21], v[133:134]
	v_fma_f64 v[109:110], v[127:128], s[10:11], -v[70:71]
	v_fma_f64 v[70:71], v[127:128], s[10:11], v[70:71]
	v_fma_f64 v[127:128], v[129:130], s[20:21], -v[133:134]
	v_fma_f64 v[133:134], v[68:69], s[16:17], v[164:165]
	v_add_f64 v[60:61], v[141:142], v[60:61]
	v_fma_f64 v[141:142], v[129:130], s[16:17], v[135:136]
	v_add_f64 v[145:146], v[170:171], v[145:146]
	v_fma_f64 v[170:171], v[76:77], s[16:17], -v[152:153]
	v_add_f64 v[150:151], v[172:173], v[150:151]
	v_fma_f64 v[172:173], v[78:79], s[16:17], v[154:155]
	v_add_f64 v[139:140], v[143:144], v[139:140]
	v_fma_f64 v[152:153], v[76:77], s[16:17], v[152:153]
	v_fma_f64 v[135:136], v[129:130], s[16:17], -v[135:136]
	v_add_f64 v[168:169], v[188:189], v[168:169]
	v_fma_f64 v[188:189], v[48:49], s[10:11], -v[92:93]
	v_fma_f64 v[143:144], v[129:130], s[10:11], v[137:138]
	v_fma_f64 v[129:130], v[129:130], s[10:11], -v[137:138]
	v_fma_f64 v[137:138], v[72:73], s[10:11], -v[158:159]
	;; [unrolled: 1-line block ×3, first 2 shown]
	v_add_f64 v[113:114], v[52:53], v[113:114]
	v_add_f64 v[54:55], v[54:55], v[115:116]
	v_fma_f64 v[52:53], v[66:67], s[10:11], -v[56:57]
	v_add_f64 v[115:116], v[44:45], v[186:187]
	v_fma_f64 v[186:187], v[68:69], s[10:11], v[131:132]
	v_add_f64 v[111:112], v[46:47], v[111:112]
	v_add_f64 v[133:134], v[133:134], v[184:185]
	v_fma_f64 v[184:185], v[74:75], s[10:11], v[160:161]
	v_fma_f64 v[158:159], v[72:73], s[10:11], v[158:159]
	v_add_f64 v[60:61], v[147:148], v[60:61]
	v_fma_f64 v[147:148], v[50:51], s[10:11], v[94:95]
	v_add_f64 v[145:146], v[170:171], v[145:146]
	v_add_f64 v[150:151], v[172:173], v[150:151]
	v_fma_f64 v[172:173], v[48:49], s[22:23], -v[166:167]
	v_add_f64 v[139:140], v[152:153], v[139:140]
	v_fma_f64 v[152:153], v[50:51], s[22:23], v[174:175]
	v_fma_f64 v[131:132], v[68:69], s[10:11], -v[131:132]
	v_fma_f64 v[192:193], v[66:67], s[20:21], -v[105:106]
	v_add_f64 v[127:128], v[46:47], v[127:128]
	v_add_f64 v[84:85], v[44:45], v[156:157]
	;; [unrolled: 1-line block ×4, first 2 shown]
	v_fma_f64 v[188:189], v[76:77], s[20:21], -v[88:89]
	v_fma_f64 v[170:171], v[78:79], s[20:21], v[90:91]
	v_add_f64 v[64:65], v[44:45], v[64:65]
	v_add_f64 v[115:116], v[52:53], v[115:116]
	;; [unrolled: 1-line block ×4, first 2 shown]
	v_fma_f64 v[186:187], v[68:69], s[20:21], v[107:108]
	v_add_f64 v[109:110], v[44:45], v[109:110]
	v_add_f64 v[143:144], v[46:47], v[143:144]
	;; [unrolled: 1-line block ×11, first 2 shown]
	v_mul_f64 v[113:114], v[82:83], s[28:29]
	v_mul_f64 v[184:185], v[80:81], s[28:29]
	v_add_f64 v[54:55], v[190:191], v[194:195]
	v_fma_f64 v[117:118], v[48:49], s[22:23], v[166:167]
	v_add_f64 v[119:120], v[131:132], v[127:128]
	v_fma_f64 v[127:128], v[50:51], s[22:23], -v[174:175]
	v_fma_f64 v[131:132], v[76:77], s[6:7], -v[176:177]
	v_add_f64 v[115:116], v[172:173], v[115:116]
	v_fma_f64 v[105:106], v[66:67], s[20:21], v[105:106]
	v_add_f64 v[111:112], v[152:153], v[111:112]
	v_fma_f64 v[107:108], v[68:69], s[20:21], -v[107:108]
	v_fma_f64 v[137:138], v[78:79], s[6:7], v[178:179]
	v_mul_f64 v[139:140], v[82:83], s[18:19]
	v_add_f64 v[84:85], v[192:193], v[84:85]
	v_fma_f64 v[145:146], v[48:49], s[6:7], -v[180:181]
	v_mul_f64 v[147:148], v[96:97], s[12:13]
	v_add_f64 v[141:142], v[186:187], v[141:142]
	v_fma_f64 v[150:151], v[50:51], s[6:7], v[182:183]
	v_mul_f64 v[154:155], v[86:87], s[12:13]
	v_fma_f64 v[160:161], v[74:75], s[10:11], -v[160:161]
	v_add_f64 v[133:134], v[188:189], v[168:169]
	v_mul_f64 v[152:153], v[80:81], s[18:19]
	v_add_f64 v[70:71], v[170:171], v[70:71]
	v_fma_f64 v[156:157], v[72:73], s[6:7], -v[113:114]
	v_fma_f64 v[158:159], v[74:75], s[6:7], v[184:185]
	v_add_f64 v[117:118], v[117:118], v[54:55]
	v_fma_f64 v[166:167], v[76:77], s[6:7], v[176:177]
	v_add_f64 v[119:120], v[127:128], v[119:120]
	v_fma_f64 v[127:128], v[78:79], s[6:7], -v[178:179]
	v_add_f64 v[115:116], v[131:132], v[115:116]
	v_add_f64 v[64:65], v[105:106], v[64:65]
	v_fma_f64 v[105:106], v[48:49], s[6:7], v[180:181]
	v_add_f64 v[107:108], v[107:108], v[135:136]
	v_fma_f64 v[131:132], v[50:51], s[6:7], -v[182:183]
	v_add_f64 v[111:112], v[137:138], v[111:112]
	v_fma_f64 v[135:136], v[72:73], s[16:17], -v[139:140]
	;; [unrolled: 2-line block ×3, first 2 shown]
	v_mul_f64 v[145:146], v[82:83], s[34:35]
	v_add_f64 v[141:142], v[150:151], v[141:142]
	v_fma_f64 v[170:171], v[78:79], s[10:11], v[154:155]
	v_fma_f64 v[172:173], v[66:67], s[6:7], -v[123:124]
	v_add_f64 v[54:55], v[160:161], v[129:130]
	v_fma_f64 v[168:169], v[74:75], s[16:17], v[152:153]
	v_fma_f64 v[129:130], v[68:69], s[6:7], v[125:126]
	v_add_f64 v[150:151], v[156:157], v[133:134]
	v_mul_f64 v[133:134], v[80:81], s[34:35]
	v_fma_f64 v[147:148], v[76:77], s[10:11], v[147:148]
	v_add_f64 v[117:118], v[166:167], v[117:118]
	v_fma_f64 v[125:126], v[68:69], s[6:7], -v[125:126]
	v_add_f64 v[119:120], v[127:128], v[119:120]
	v_fma_f64 v[127:128], v[72:73], s[16:17], v[139:140]
	v_fma_f64 v[139:140], v[74:75], s[16:17], -v[152:153]
	v_add_f64 v[105:106], v[105:106], v[64:65]
	v_add_f64 v[152:153], v[158:159], v[70:71]
	;; [unrolled: 1-line block ×3, first 2 shown]
	v_fma_f64 v[131:132], v[78:79], s[10:11], -v[154:155]
	v_add_f64 v[154:155], v[135:136], v[115:116]
	v_add_f64 v[64:65], v[18:19], -v[30:31]
	v_add_f64 v[70:71], v[137:138], v[84:85]
	v_fma_f64 v[115:116], v[72:73], s[22:23], -v[145:146]
	v_add_f64 v[84:85], v[18:19], v[30:31]
	v_add_f64 v[135:136], v[170:171], v[141:142]
	;; [unrolled: 1-line block ×3, first 2 shown]
	v_fma_f64 v[137:138], v[48:49], s[16:17], -v[121:122]
	v_mul_f64 v[141:142], v[96:97], s[34:35]
	v_add_f64 v[156:157], v[168:169], v[111:112]
	v_add_f64 v[129:130], v[129:130], v[143:144]
	v_fma_f64 v[96:97], v[50:51], s[16:17], v[98:99]
	v_mul_f64 v[170:171], v[86:87], s[34:35]
	v_fma_f64 v[143:144], v[74:75], s[22:23], v[133:134]
	v_fma_f64 v[123:124], v[66:67], s[6:7], v[123:124]
	v_add_f64 v[86:87], v[26:27], v[34:35]
	v_add_f64 v[158:159], v[127:128], v[117:118]
	;; [unrolled: 1-line block ×4, first 2 shown]
	v_fma_f64 v[119:120], v[72:73], s[22:23], v[145:146]
	v_fma_f64 v[127:128], v[74:75], s[22:23], -v[133:134]
	v_add_f64 v[107:108], v[131:132], v[107:108]
	v_fma_f64 v[131:132], v[66:67], s[16:17], v[162:163]
	v_fma_f64 v[133:134], v[68:69], s[16:17], -v[164:165]
	v_add_f64 v[66:67], v[16:17], v[28:29]
	v_add_f64 v[162:163], v[115:116], v[70:71]
	v_mul_f64 v[105:106], v[64:65], s[14:15]
	v_add_f64 v[70:71], v[26:27], -v[34:35]
	v_add_f64 v[68:69], v[16:17], -v[28:29]
	v_mul_f64 v[111:112], v[84:85], s[20:21]
	v_add_f64 v[109:110], v[137:138], v[109:110]
	v_fma_f64 v[115:116], v[76:77], s[22:23], -v[141:142]
	v_add_f64 v[46:47], v[125:126], v[46:47]
	v_fma_f64 v[125:126], v[50:51], s[16:17], -v[98:99]
	v_mul_f64 v[145:146], v[64:65], s[18:19]
	v_mul_f64 v[147:148], v[84:85], s[16:17]
	v_add_f64 v[129:130], v[96:97], v[129:130]
	v_fma_f64 v[137:138], v[78:79], s[22:23], v[170:171]
	v_add_f64 v[164:165], v[143:144], v[135:136]
	v_add_f64 v[44:45], v[123:124], v[44:45]
	v_fma_f64 v[123:124], v[48:49], s[16:17], v[121:122]
	v_add_f64 v[166:167], v[119:120], v[117:118]
	v_fma_f64 v[48:49], v[48:49], s[10:11], v[92:93]
	v_add_f64 v[168:169], v[127:128], v[107:108]
	v_add_f64 v[107:108], v[131:132], v[196:197]
	;; [unrolled: 1-line block ×3, first 2 shown]
	v_fma_f64 v[50:51], v[50:51], s[10:11], -v[94:95]
	v_add_f64 v[92:93], v[24:25], v[32:33]
	v_fma_f64 v[127:128], v[66:67], s[20:21], -v[105:106]
	v_mul_f64 v[117:118], v[70:71], s[26:27]
	v_add_f64 v[94:95], v[24:25], -v[32:33]
	v_fma_f64 v[131:132], v[68:69], s[14:15], v[111:112]
	v_mul_f64 v[121:122], v[86:87], s[10:11]
	v_add_f64 v[115:116], v[115:116], v[109:110]
	v_add_f64 v[96:97], v[22:23], -v[38:39]
	v_add_f64 v[98:99], v[22:23], v[38:39]
	v_add_f64 v[46:47], v[125:126], v[46:47]
	v_fma_f64 v[109:110], v[66:67], s[16:17], -v[145:146]
	v_mul_f64 v[139:140], v[70:71], s[30:31]
	v_fma_f64 v[125:126], v[68:69], s[18:19], v[147:148]
	v_mul_f64 v[143:144], v[86:87], s[20:21]
	v_add_f64 v[133:134], v[137:138], v[129:130]
	v_mul_f64 v[82:83], v[82:83], s[14:15]
	v_mul_f64 v[80:81], v[80:81], s[14:15]
	v_add_f64 v[44:45], v[123:124], v[44:45]
	v_fma_f64 v[129:130], v[76:77], s[22:23], v[141:142]
	v_fma_f64 v[135:136], v[78:79], s[22:23], -v[170:171]
	v_add_f64 v[48:49], v[48:49], v[107:108]
	v_add_f64 v[50:51], v[50:51], v[119:120]
	v_fma_f64 v[107:108], v[76:77], s[20:21], v[88:89]
	v_fma_f64 v[141:142], v[78:79], s[20:21], -v[90:91]
	v_add_f64 v[127:128], v[0:1], v[127:128]
	v_fma_f64 v[170:171], v[92:93], s[10:11], -v[117:118]
	v_add_f64 v[172:173], v[2:3], v[131:132]
	v_fma_f64 v[174:175], v[94:95], s[26:27], v[121:122]
	v_add_f64 v[76:77], v[20:21], v[36:37]
	v_mul_f64 v[119:120], v[96:97], s[34:35]
	v_add_f64 v[78:79], v[20:21], -v[36:37]
	v_mul_f64 v[123:124], v[98:99], s[22:23]
	v_add_f64 v[88:89], v[14:15], -v[42:43]
	v_add_f64 v[90:91], v[14:15], v[42:43]
	v_add_f64 v[180:181], v[0:1], v[109:110]
	v_fma_f64 v[182:183], v[92:93], s[20:21], -v[139:140]
	v_add_f64 v[186:187], v[2:3], v[125:126]
	v_fma_f64 v[188:189], v[94:95], s[30:31], v[143:144]
	v_mul_f64 v[131:132], v[96:97], s[4:5]
	v_mul_f64 v[137:138], v[98:99], s[6:7]
	v_fma_f64 v[176:177], v[72:73], s[20:21], -v[82:83]
	v_fma_f64 v[178:179], v[74:75], s[20:21], v[80:81]
	v_add_f64 v[44:45], v[129:130], v[44:45]
	v_add_f64 v[46:47], v[135:136], v[46:47]
	v_fma_f64 v[82:83], v[72:73], s[20:21], v[82:83]
	v_fma_f64 v[190:191], v[74:75], s[20:21], -v[80:81]
	v_add_f64 v[48:49], v[107:108], v[48:49]
	v_add_f64 v[50:51], v[141:142], v[50:51]
	v_fma_f64 v[113:114], v[72:73], s[6:7], v[113:114]
	v_fma_f64 v[74:75], v[74:75], s[6:7], -v[184:185]
	v_add_f64 v[141:142], v[170:171], v[127:128]
	v_add_f64 v[184:185], v[174:175], v[172:173]
	v_fma_f64 v[192:193], v[76:77], s[22:23], -v[119:120]
	v_fma_f64 v[194:195], v[78:79], s[34:35], v[123:124]
	v_add_f64 v[72:73], v[12:13], v[40:41]
	v_mul_f64 v[125:126], v[88:89], s[4:5]
	v_add_f64 v[80:81], v[12:13], -v[40:41]
	v_mul_f64 v[127:128], v[90:91], s[6:7]
	v_add_f64 v[107:108], v[10:11], -v[6:7]
	v_add_f64 v[109:110], v[10:11], v[6:7]
	v_add_f64 v[182:183], v[182:183], v[180:181]
	;; [unrolled: 1-line block ×3, first 2 shown]
	v_fma_f64 v[188:189], v[76:77], s[6:7], -v[131:132]
	v_fma_f64 v[196:197], v[78:79], s[4:5], v[137:138]
	v_mul_f64 v[129:130], v[88:89], s[12:13]
	v_mul_f64 v[135:136], v[90:91], s[10:11]
	v_add_f64 v[170:171], v[176:177], v[115:116]
	v_add_f64 v[172:173], v[178:179], v[133:134]
	;; [unrolled: 1-line block ×7, first 2 shown]
	v_add_f64 v[82:83], v[8:9], -v[4:5]
	v_add_f64 v[44:45], v[192:193], v[141:142]
	v_add_f64 v[46:47], v[194:195], v[184:185]
	ds_write_b128 v101, v[60:63]
	ds_write_b128 v101, v[56:59] offset:16
	ds_write_b128 v101, v[150:153] offset:32
	;; [unrolled: 1-line block ×10, first 2 shown]
	v_fma_f64 v[48:49], v[72:73], s[6:7], -v[125:126]
	v_fma_f64 v[50:51], v[80:81], s[4:5], v[127:128]
	v_mul_f64 v[113:114], v[107:108], s[18:19]
	v_mul_f64 v[115:116], v[109:110], s[16:17]
	v_add_f64 v[182:183], v[188:189], v[182:183]
	v_add_f64 v[184:185], v[196:197], v[186:187]
	v_fma_f64 v[186:187], v[72:73], s[10:11], -v[129:130]
	v_fma_f64 v[188:189], v[80:81], s[12:13], v[135:136]
	v_mul_f64 v[133:134], v[107:108], s[34:35]
	v_mul_f64 v[141:142], v[109:110], s[22:23]
	v_add_f64 v[44:45], v[48:49], v[44:45]
	v_add_f64 v[46:47], v[50:51], v[46:47]
	v_fma_f64 v[48:49], v[74:75], s[16:17], -v[113:114]
	v_fma_f64 v[50:51], v[82:83], s[18:19], v[115:116]
	v_add_f64 v[182:183], v[186:187], v[182:183]
	v_add_f64 v[184:185], v[188:189], v[184:185]
	v_fma_f64 v[186:187], v[74:75], s[22:23], -v[133:134]
	v_fma_f64 v[188:189], v[82:83], s[34:35], v[141:142]
	v_add_f64 v[44:45], v[48:49], v[44:45]
	v_add_f64 v[46:47], v[50:51], v[46:47]
	;; [unrolled: 1-line block ×4, first 2 shown]
	v_cmpx_gt_u32_e32 40, v100
	s_cbranch_execz .LBB0_15
; %bb.14:
	v_mul_f64 v[54:55], v[64:65], s[12:13]
	v_mul_f64 v[56:57], v[68:69], s[18:19]
	v_mul_f64 v[58:59], v[66:67], s[16:17]
	v_add_f64 v[18:19], v[2:3], v[18:19]
	v_add_f64 v[16:17], v[0:1], v[16:17]
	v_mul_f64 v[52:53], v[84:85], s[10:11]
	v_mul_f64 v[154:155], v[92:93], s[20:21]
	;; [unrolled: 1-line block ×14, first 2 shown]
	s_mov_b32 s1, 0x3fe82f19
	s_mov_b32 s0, s18
	v_mul_f64 v[160:161], v[76:77], s[22:23]
	v_fma_f64 v[170:171], v[66:67], s[10:11], v[54:55]
	v_fma_f64 v[54:55], v[66:67], s[10:11], -v[54:55]
	v_add_f64 v[56:57], v[147:148], -v[56:57]
	v_add_f64 v[58:59], v[58:59], v[145:146]
	v_add_f64 v[18:19], v[18:19], v[26:27]
	;; [unrolled: 1-line block ×3, first 2 shown]
	v_fma_f64 v[168:169], v[68:69], s[26:27], v[52:53]
	v_fma_f64 v[52:53], v[68:69], s[12:13], v[52:53]
	v_mul_f64 v[145:146], v[78:79], s[4:5]
	v_add_f64 v[143:144], v[143:144], -v[156:157]
	v_add_f64 v[139:140], v[154:155], v[139:140]
	v_fma_f64 v[154:155], v[92:93], s[6:7], v[162:163]
	v_fma_f64 v[162:163], v[92:93], s[6:7], -v[162:163]
	v_fma_f64 v[156:157], v[94:95], s[4:5], v[158:159]
	v_fma_f64 v[158:159], v[94:95], s[28:29], v[158:159]
	v_mul_f64 v[24:25], v[88:89], s[34:35]
	v_add_f64 v[62:63], v[111:112], -v[62:63]
	v_add_f64 v[60:61], v[60:61], v[105:106]
	v_add_f64 v[111:112], v[166:167], v[131:132]
	v_fma_f64 v[166:167], v[76:77], s[16:17], -v[182:183]
	v_mul_f64 v[164:165], v[78:79], s[34:35]
	v_mul_f64 v[186:187], v[74:75], s[22:23]
	v_add_f64 v[170:171], v[0:1], v[170:171]
	v_add_f64 v[54:55], v[0:1], v[54:55]
	;; [unrolled: 1-line block ×8, first 2 shown]
	v_add_f64 v[105:106], v[137:138], -v[145:146]
	v_mul_f64 v[190:191], v[90:91], s[22:23]
	v_fma_f64 v[131:132], v[78:79], s[0:1], v[180:181]
	v_fma_f64 v[137:138], v[76:77], s[16:17], v[182:183]
	v_add_f64 v[121:122], v[121:122], -v[152:153]
	v_add_f64 v[117:118], v[150:151], v[117:118]
	v_add_f64 v[135:136], v[135:136], -v[176:177]
	v_add_f64 v[129:130], v[174:175], v[129:130]
	v_add_f64 v[62:63], v[2:3], v[62:63]
	;; [unrolled: 1-line block ×3, first 2 shown]
	v_mul_f64 v[147:148], v[72:73], s[6:7]
	v_mul_f64 v[20:21], v[70:71], s[18:19]
	v_add_f64 v[119:120], v[160:161], v[119:120]
	v_mul_f64 v[70:71], v[70:71], s[24:25]
	v_add_f64 v[154:155], v[154:155], v[170:171]
	v_add_f64 v[54:55], v[162:163], v[54:55]
	;; [unrolled: 1-line block ×8, first 2 shown]
	v_mul_f64 v[158:159], v[84:85], s[22:23]
	v_fma_f64 v[162:163], v[72:73], s[22:23], v[24:25]
	v_fma_f64 v[24:25], v[72:73], s[22:23], -v[24:25]
	v_mul_f64 v[84:85], v[84:85], s[6:7]
	v_mul_f64 v[143:144], v[86:87], s[16:17]
	v_fma_f64 v[22:23], v[80:81], s[24:25], v[190:191]
	v_fma_f64 v[145:146], v[78:79], s[18:19], v[180:181]
	v_mul_f64 v[172:173], v[80:81], s[4:5]
	v_add_f64 v[62:63], v[121:122], v[62:63]
	v_add_f64 v[60:61], v[117:118], v[60:61]
	;; [unrolled: 1-line block ×3, first 2 shown]
	v_mul_f64 v[26:27], v[109:110], s[20:21]
	v_mul_f64 v[139:140], v[107:108], s[14:15]
	v_fma_f64 v[152:153], v[80:81], s[34:35], v[190:191]
	v_add_f64 v[137:138], v[137:138], v[154:155]
	v_add_f64 v[54:55], v[166:167], v[54:55]
	;; [unrolled: 1-line block ×4, first 2 shown]
	v_mul_f64 v[105:106], v[64:65], s[24:25]
	v_mul_f64 v[64:65], v[64:65], s[4:5]
	v_add_f64 v[10:11], v[14:15], v[10:11]
	v_add_f64 v[8:9], v[12:13], v[8:9]
	v_add_f64 v[131:132], v[131:132], v[156:157]
	v_add_f64 v[111:112], v[123:124], -v[164:165]
	v_fma_f64 v[133:134], v[68:69], s[24:25], v[158:159]
	v_mul_f64 v[188:189], v[82:83], s[34:35]
	v_mul_f64 v[178:179], v[74:75], s[16:17]
	;; [unrolled: 1-line block ×3, first 2 shown]
	v_add_f64 v[52:53], v[145:146], v[52:53]
	v_add_f64 v[127:128], v[127:128], -v[172:173]
	v_add_f64 v[60:61], v[119:120], v[60:61]
	v_fma_f64 v[119:120], v[94:95], s[18:19], v[143:144]
	v_fma_f64 v[16:17], v[82:83], s[30:31], v[26:27]
	;; [unrolled: 1-line block ×4, first 2 shown]
	v_fma_f64 v[121:122], v[74:75], s[20:21], -v[139:140]
	v_add_f64 v[24:25], v[24:25], v[54:55]
	v_add_f64 v[54:55], v[135:136], v[56:57]
	;; [unrolled: 1-line block ×3, first 2 shown]
	v_mul_f64 v[58:59], v[86:87], s[22:23]
	v_fma_f64 v[86:87], v[68:69], s[4:5], v[84:85]
	v_fma_f64 v[12:13], v[66:67], s[6:7], -v[64:65]
	v_fma_f64 v[14:15], v[66:67], s[22:23], -v[105:106]
	v_fma_f64 v[129:130], v[68:69], s[34:35], v[158:159]
	v_fma_f64 v[105:106], v[66:67], s[22:23], v[105:106]
	;; [unrolled: 1-line block ×4, first 2 shown]
	v_add_f64 v[6:7], v[10:11], v[6:7]
	v_add_f64 v[4:5], v[8:9], v[4:5]
	;; [unrolled: 1-line block ×6, first 2 shown]
	v_mul_f64 v[66:67], v[98:99], s[10:11]
	v_mul_f64 v[84:85], v[96:97], s[26:27]
	v_add_f64 v[125:126], v[2:3], v[133:134]
	v_mul_f64 v[98:99], v[98:99], s[20:21]
	v_mul_f64 v[96:97], v[96:97], s[14:15]
	v_fma_f64 v[137:138], v[92:93], s[22:23], -v[70:71]
	v_fma_f64 v[133:134], v[92:93], s[16:17], -v[20:21]
	v_fma_f64 v[20:21], v[92:93], s[16:17], v[20:21]
	v_fma_f64 v[135:136], v[94:95], s[24:25], v[58:59]
	v_add_f64 v[86:87], v[2:3], v[86:87]
	v_add_f64 v[8:9], v[0:1], v[12:13]
	;; [unrolled: 1-line block ×3, first 2 shown]
	v_fma_f64 v[12:13], v[94:95], s[0:1], v[143:144]
	v_add_f64 v[14:15], v[2:3], v[129:130]
	v_add_f64 v[105:106], v[0:1], v[105:106]
	v_fma_f64 v[58:59], v[94:95], s[34:35], v[58:59]
	v_add_f64 v[2:3], v[2:3], v[68:69]
	v_fma_f64 v[68:69], v[92:93], s[22:23], v[70:71]
	v_add_f64 v[0:1], v[0:1], v[64:65]
	v_add_f64 v[6:7], v[6:7], v[42:43]
	;; [unrolled: 1-line block ×3, first 2 shown]
	v_mul_f64 v[64:65], v[90:91], s[20:21]
	v_mul_f64 v[70:71], v[88:89], s[30:31]
	v_fma_f64 v[92:93], v[78:79], s[26:27], v[66:67]
	v_add_f64 v[94:95], v[119:120], v[125:126]
	v_mul_f64 v[90:91], v[90:91], s[16:17]
	v_mul_f64 v[88:89], v[88:89], s[18:19]
	v_fma_f64 v[125:126], v[78:79], s[14:15], v[98:99]
	v_fma_f64 v[129:130], v[76:77], s[20:21], -v[96:97]
	v_fma_f64 v[119:120], v[76:77], s[10:11], -v[84:85]
	v_fma_f64 v[40:41], v[78:79], s[12:13], v[66:67]
	v_add_f64 v[86:87], v[135:136], v[86:87]
	v_add_f64 v[8:9], v[137:138], v[8:9]
	;; [unrolled: 1-line block ×3, first 2 shown]
	v_fma_f64 v[42:43], v[78:79], s[30:31], v[98:99]
	v_add_f64 v[12:13], v[12:13], v[14:15]
	v_fma_f64 v[14:15], v[76:77], s[10:11], v[84:85]
	v_add_f64 v[20:21], v[20:21], v[105:106]
	v_add_f64 v[2:3], v[58:59], v[2:3]
	v_fma_f64 v[58:59], v[76:77], s[20:21], v[96:97]
	v_add_f64 v[0:1], v[68:69], v[0:1]
	v_add_f64 v[6:7], v[6:7], v[38:39]
	;; [unrolled: 1-line block ×3, first 2 shown]
	v_fma_f64 v[76:77], v[80:81], s[30:31], v[64:65]
	v_mul_f64 v[66:67], v[109:110], s[6:7]
	v_mul_f64 v[68:69], v[107:108], s[28:29]
	v_add_f64 v[78:79], v[92:93], v[94:95]
	v_mul_f64 v[92:93], v[109:110], s[10:11]
	v_mul_f64 v[94:95], v[107:108], s[12:13]
	v_fma_f64 v[96:97], v[80:81], s[18:19], v[90:91]
	v_fma_f64 v[98:99], v[72:73], s[16:17], -v[88:89]
	v_fma_f64 v[84:85], v[72:73], s[20:21], -v[70:71]
	v_fma_f64 v[36:37], v[80:81], s[14:15], v[64:65]
	v_add_f64 v[86:87], v[125:126], v[86:87]
	v_add_f64 v[8:9], v[129:130], v[8:9]
	;; [unrolled: 1-line block ×3, first 2 shown]
	v_fma_f64 v[38:39], v[72:73], s[20:21], v[70:71]
	v_add_f64 v[12:13], v[40:41], v[12:13]
	v_fma_f64 v[40:41], v[72:73], s[16:17], v[88:89]
	v_add_f64 v[14:15], v[14:15], v[20:21]
	v_fma_f64 v[20:21], v[80:81], s[0:1], v[90:91]
	v_add_f64 v[2:3], v[42:43], v[2:3]
	v_add_f64 v[0:1], v[58:59], v[0:1]
	v_add_f64 v[34:35], v[6:7], v[34:35]
	;; [unrolled: 1-line block ×4, first 2 shown]
	v_fma_f64 v[64:65], v[82:83], s[28:29], v[66:67]
	v_fma_f64 v[72:73], v[74:75], s[6:7], -v[68:69]
	v_add_f64 v[70:71], v[76:77], v[78:79]
	v_fma_f64 v[76:77], v[82:83], s[12:13], v[92:93]
	v_fma_f64 v[80:81], v[74:75], s[10:11], -v[94:95]
	v_add_f64 v[123:124], v[141:142], -v[188:189]
	v_add_f64 v[42:43], v[115:116], -v[184:185]
	v_add_f64 v[58:59], v[127:128], v[62:63]
	v_add_f64 v[62:63], v[178:179], v[113:114]
	;; [unrolled: 1-line block ×6, first 2 shown]
	v_fma_f64 v[66:67], v[82:83], s[4:5], v[66:67]
	v_add_f64 v[36:37], v[36:37], v[12:13]
	v_fma_f64 v[68:69], v[74:75], s[6:7], v[68:69]
	v_add_f64 v[38:39], v[38:39], v[14:15]
	;; [unrolled: 2-line block ×4, first 2 shown]
	v_add_f64 v[2:3], v[16:17], v[22:23]
	v_add_f64 v[0:1], v[18:19], v[131:132]
	;; [unrolled: 1-line block ×15, first 2 shown]
	v_mad_i32_i24 v36, 0xb0, v104, 0
	v_add_f64 v[28:29], v[68:69], v[38:39]
	v_add_f64 v[34:35], v[82:83], v[86:87]
	;; [unrolled: 1-line block ×3, first 2 shown]
	ds_write_b128 v36, v[16:19]
	ds_write_b128 v36, v[12:15] offset:16
	ds_write_b128 v36, v[8:11] offset:32
	;; [unrolled: 1-line block ×10, first 2 shown]
.LBB0_15:
	s_or_b32 exec_lo, exec_lo, s33
	v_lshl_add_u32 v107, v104, 4, 0
	s_waitcnt lgkmcnt(0)
	s_barrier
	buffer_gl0_inv
	ds_read_b128 v[4:7], v149
	ds_read_b128 v[0:3], v107
	ds_read_b128 v[28:31], v149 offset:14960
	ds_read_b128 v[32:35], v149 offset:16720
	;; [unrolled: 1-line block ×12, first 2 shown]
	v_cmp_gt_u32_e64 s0, 55, v100
	s_and_saveexec_b32 s1, s0
	s_cbranch_execz .LBB0_17
; %bb.16:
	ds_read_b128 v[44:47], v149 offset:12320
	ds_read_b128 v[48:51], v149 offset:25520
.LBB0_17:
	s_or_b32 exec_lo, exec_lo, s1
	v_and_b32_e32 v64, 0xff, v100
	v_and_b32_e32 v105, 0xff, v104
	v_add_nc_u32_e32 v112, 0xdc, v100
	v_mov_b32_e32 v67, 0xba2f
	v_add_nc_u32_e32 v111, 0x14a, v100
	v_mul_lo_u16 v64, 0x75, v64
	v_mul_lo_u16 v65, 0x75, v105
	v_add_nc_u32_e32 v109, 0x226, v100
	v_add_nc_u32_e32 v110, 0x1b8, v100
	v_mul_u32_u24_sdwa v66, v112, v67 dst_sel:DWORD dst_unused:UNUSED_PAD src0_sel:WORD_0 src1_sel:DWORD
	v_lshrrev_b16 v68, 8, v64
	v_lshrrev_b16 v69, 8, v65
	v_add_nc_u32_e32 v106, 0x294, v100
	v_mul_u32_u24_sdwa v72, v109, v67 dst_sel:DWORD dst_unused:UNUSED_PAD src0_sel:WORD_0 src1_sel:DWORD
	v_lshrrev_b32_e32 v123, 19, v66
	v_sub_nc_u16 v64, v100, v68
	v_sub_nc_u16 v65, v104, v69
	v_mul_u32_u24_sdwa v73, v106, v67 dst_sel:DWORD dst_unused:UNUSED_PAD src0_sel:WORD_0 src1_sel:DWORD
	v_lshrrev_b32_e32 v126, 19, v72
	v_mov_b32_e32 v101, 4
	v_lshrrev_b16 v70, 1, v64
	v_lshrrev_b16 v71, 1, v65
	v_mul_u32_u24_sdwa v65, v111, v67 dst_sel:DWORD dst_unused:UNUSED_PAD src0_sel:WORD_0 src1_sel:DWORD
	v_mul_u32_u24_sdwa v64, v110, v67 dst_sel:DWORD dst_unused:UNUSED_PAD src0_sel:WORD_0 src1_sel:DWORD
	v_lshrrev_b32_e32 v128, 19, v73
	v_and_b32_e32 v70, 0x7f, v70
	v_and_b32_e32 v71, 0x7f, v71
	v_lshrrev_b32_e32 v124, 19, v65
	v_lshrrev_b32_e32 v125, 19, v64
	v_mul_lo_u16 v73, v126, 11
	v_add_nc_u16 v68, v70, v68
	v_add_nc_u16 v69, v71, v69
	v_mul_lo_u16 v74, v128, 11
	v_mul_lo_u16 v71, v125, 11
	v_sub_nc_u16 v80, v109, v73
	v_lshrrev_b16 v127, 3, v68
	v_lshrrev_b16 v129, 3, v69
	v_mul_lo_u16 v68, v123, 11
	v_mul_lo_u16 v69, v124, 11
	v_sub_nc_u16 v76, v110, v71
	v_mul_lo_u16 v70, v127, 11
	v_mul_lo_u16 v72, v129, 11
	v_sub_nc_u16 v68, v112, v68
	v_sub_nc_u16 v75, v111, v69
	;; [unrolled: 1-line block ×5, first 2 shown]
	v_lshlrev_b32_sdwa v132, v101, v68 dst_sel:DWORD dst_unused:UNUSED_PAD src0_sel:DWORD src1_sel:WORD_0
	v_lshlrev_b32_sdwa v133, v101, v75 dst_sel:DWORD dst_unused:UNUSED_PAD src0_sel:DWORD src1_sel:WORD_0
	;; [unrolled: 1-line block ×3, first 2 shown]
	v_lshlrev_b32_sdwa v130, v101, v70 dst_sel:DWORD dst_unused:UNUSED_PAD src0_sel:DWORD src1_sel:BYTE_0
	v_lshlrev_b32_sdwa v131, v101, v72 dst_sel:DWORD dst_unused:UNUSED_PAD src0_sel:DWORD src1_sel:BYTE_0
	global_load_dwordx4 v[76:79], v132, s[8:9]
	v_lshlrev_b32_sdwa v135, v101, v80 dst_sel:DWORD dst_unused:UNUSED_PAD src0_sel:DWORD src1_sel:WORD_0
	s_clause 0x2
	global_load_dwordx4 v[80:83], v133, s[8:9]
	global_load_dwordx4 v[68:71], v130, s[8:9]
	;; [unrolled: 1-line block ×3, first 2 shown]
	v_lshlrev_b32_sdwa v136, v101, v84 dst_sel:DWORD dst_unused:UNUSED_PAD src0_sel:DWORD src1_sel:WORD_0
	s_clause 0x2
	global_load_dwordx4 v[84:87], v134, s[8:9]
	global_load_dwordx4 v[88:91], v135, s[8:9]
	global_load_dwordx4 v[92:95], v136, s[8:9]
	v_add_nc_u32_e32 v108, 0x302, v100
	s_waitcnt vmcnt(0) lgkmcnt(0)
	s_barrier
	buffer_gl0_inv
	v_mul_f64 v[113:114], v[34:35], v[78:79]
	v_mul_f64 v[78:79], v[32:33], v[78:79]
	v_mul_f64 v[115:116], v[38:39], v[82:83]
	v_mul_f64 v[96:97], v[62:63], v[70:71]
	v_mul_f64 v[70:71], v[60:61], v[70:71]
	v_mul_f64 v[98:99], v[30:31], v[74:75]
	v_mul_f64 v[74:75], v[28:29], v[74:75]
	v_mul_f64 v[82:83], v[36:37], v[82:83]
	v_mul_f64 v[117:118], v[42:43], v[86:87]
	v_mul_f64 v[86:87], v[40:41], v[86:87]
	v_mul_f64 v[119:120], v[58:59], v[90:91]
	v_mul_f64 v[90:91], v[56:57], v[90:91]
	v_mul_f64 v[121:122], v[54:55], v[94:95]
	v_mul_f64 v[94:95], v[52:53], v[94:95]
	v_fma_f64 v[60:61], v[60:61], v[68:69], -v[96:97]
	v_fma_f64 v[62:63], v[62:63], v[68:69], v[70:71]
	v_fma_f64 v[68:69], v[28:29], v[72:73], -v[98:99]
	v_fma_f64 v[70:71], v[30:31], v[72:73], v[74:75]
	;; [unrolled: 2-line block ×7, first 2 shown]
	v_mov_b32_e32 v88, 0x160
	v_add_f64 v[28:29], v[4:5], -v[60:61]
	v_add_f64 v[30:31], v[6:7], -v[62:63]
	;; [unrolled: 1-line block ×14, first 2 shown]
	v_mul_u32_u24_sdwa v73, v127, v88 dst_sel:DWORD dst_unused:UNUSED_PAD src0_sel:WORD_0 src1_sel:DWORD
	v_mul_u32_u24_sdwa v74, v129, v88 dst_sel:DWORD dst_unused:UNUSED_PAD src0_sel:WORD_0 src1_sel:DWORD
	v_mul_u32_u24_e32 v68, 0x160, v123
	v_mul_u32_u24_e32 v69, 0x160, v124
	v_mul_u32_u24_e32 v70, 0x160, v125
	v_mul_u32_u24_e32 v71, 0x160, v126
	v_mul_u32_u24_e32 v72, 0x160, v128
	v_add3_u32 v73, 0, v73, v130
	v_fma_f64 v[4:5], v[4:5], 2.0, -v[28:29]
	v_fma_f64 v[6:7], v[6:7], 2.0, -v[30:31]
	v_fma_f64 v[0:1], v[0:1], 2.0, -v[32:33]
	v_fma_f64 v[2:3], v[2:3], 2.0, -v[34:35]
	v_fma_f64 v[12:13], v[12:13], 2.0, -v[36:37]
	v_fma_f64 v[14:15], v[14:15], 2.0, -v[38:39]
	v_fma_f64 v[8:9], v[8:9], 2.0, -v[40:41]
	v_fma_f64 v[10:11], v[10:11], 2.0, -v[42:43]
	v_fma_f64 v[20:21], v[20:21], 2.0, -v[52:53]
	v_fma_f64 v[22:23], v[22:23], 2.0, -v[54:55]
	v_fma_f64 v[16:17], v[16:17], 2.0, -v[56:57]
	v_fma_f64 v[18:19], v[18:19], 2.0, -v[58:59]
	v_fma_f64 v[24:25], v[24:25], 2.0, -v[60:61]
	v_fma_f64 v[26:27], v[26:27], 2.0, -v[62:63]
	v_add3_u32 v74, 0, v74, v131
	v_add3_u32 v68, 0, v68, v132
	;; [unrolled: 1-line block ×6, first 2 shown]
	ds_write_b128 v73, v[28:31] offset:176
	ds_write_b128 v73, v[4:7]
	ds_write_b128 v74, v[0:3]
	ds_write_b128 v74, v[32:35] offset:176
	ds_write_b128 v68, v[12:15]
	ds_write_b128 v68, v[36:39] offset:176
	;; [unrolled: 2-line block ×6, first 2 shown]
	s_and_saveexec_b32 s1, s0
	s_cbranch_execz .LBB0_19
; %bb.18:
	v_mul_u32_u24_sdwa v0, v108, v67 dst_sel:DWORD dst_unused:UNUSED_PAD src0_sel:WORD_0 src1_sel:DWORD
	v_lshrrev_b32_e32 v8, 19, v0
	v_mul_lo_u16 v0, v8, 11
	v_mul_lo_u16 v8, v8, 22
	v_sub_nc_u16 v0, v108, v0
	v_lshlrev_b32_sdwa v8, v101, v8 dst_sel:DWORD dst_unused:UNUSED_PAD src0_sel:DWORD src1_sel:WORD_0
	v_lshlrev_b32_sdwa v9, v101, v0 dst_sel:DWORD dst_unused:UNUSED_PAD src0_sel:DWORD src1_sel:WORD_0
	global_load_dwordx4 v[0:3], v9, s[8:9]
	v_add3_u32 v8, 0, v9, v8
	s_waitcnt vmcnt(0)
	v_mul_f64 v[4:5], v[48:49], v[2:3]
	v_mul_f64 v[2:3], v[50:51], v[2:3]
	v_fma_f64 v[4:5], v[50:51], v[0:1], v[4:5]
	v_fma_f64 v[0:1], v[48:49], v[0:1], -v[2:3]
	v_add_f64 v[2:3], v[46:47], -v[4:5]
	v_add_f64 v[0:1], v[44:45], -v[0:1]
	v_fma_f64 v[6:7], v[46:47], 2.0, -v[2:3]
	v_fma_f64 v[4:5], v[44:45], 2.0, -v[0:1]
	ds_write_b128 v8, v[4:7]
	ds_write_b128 v8, v[0:3] offset:176
.LBB0_19:
	s_or_b32 exec_lo, exec_lo, s1
	v_lshrrev_b16 v0, 1, v100
	v_lshrrev_b16 v1, 1, v105
	v_lshrrev_b32_e32 v113, 20, v66
	v_lshrrev_b32_e32 v120, 20, v65
	;; [unrolled: 1-line block ×3, first 2 shown]
	v_and_b32_e32 v0, 0x7f, v0
	v_mul_lo_u16 v1, 0xbb, v1
	v_mul_lo_u16 v2, v113, 22
	v_mov_b32_e32 v3, 5
	s_waitcnt lgkmcnt(0)
	v_mul_lo_u16 v0, 0xbb, v0
	v_lshrrev_b16 v117, 11, v1
	v_mul_lo_u16 v1, v120, 22
	v_sub_nc_u16 v122, v112, v2
	v_mul_lo_u16 v2, v124, 22
	v_lshrrev_b16 v121, 11, v0
	v_mul_lo_u16 v0, v117, 22
	v_sub_nc_u16 v123, v111, v1
	v_lshlrev_b32_sdwa v1, v3, v122 dst_sel:DWORD dst_unused:UNUSED_PAD src0_sel:DWORD src1_sel:WORD_0
	v_sub_nc_u16 v125, v110, v2
	v_mul_lo_u16 v4, v121, 22
	v_sub_nc_u16 v118, v104, v0
	v_lshlrev_b32_sdwa v0, v3, v123 dst_sel:DWORD dst_unused:UNUSED_PAD src0_sel:DWORD src1_sel:WORD_0
	s_barrier
	buffer_gl0_inv
	v_sub_nc_u16 v119, v100, v4
	s_clause 0x1
	global_load_dwordx4 v[32:35], v1, s[8:9] offset:176
	global_load_dwordx4 v[28:31], v1, s[8:9] offset:192
	v_lshlrev_b32_sdwa v1, v3, v125 dst_sel:DWORD dst_unused:UNUSED_PAD src0_sel:DWORD src1_sel:WORD_0
	v_lshlrev_b32_sdwa v2, v3, v118 dst_sel:DWORD dst_unused:UNUSED_PAD src0_sel:DWORD src1_sel:BYTE_0
	s_clause 0x1
	global_load_dwordx4 v[40:43], v0, s[8:9] offset:176
	global_load_dwordx4 v[36:39], v0, s[8:9] offset:192
	v_lshlrev_b32_sdwa v0, v3, v119 dst_sel:DWORD dst_unused:UNUSED_PAD src0_sel:DWORD src1_sel:BYTE_0
	s_clause 0x5
	global_load_dwordx4 v[60:63], v1, s[8:9] offset:176
	global_load_dwordx4 v[24:27], v2, s[8:9] offset:176
	global_load_dwordx4 v[20:23], v2, s[8:9] offset:192
	global_load_dwordx4 v[52:55], v0, s[8:9] offset:176
	global_load_dwordx4 v[48:51], v0, s[8:9] offset:192
	global_load_dwordx4 v[44:47], v1, s[8:9] offset:192
	ds_read_b128 v[0:3], v107
	ds_read_b128 v[64:67], v149 offset:8800
	ds_read_b128 v[56:59], v149 offset:10560
	ds_read_b128 v[8:11], v149
	ds_read_b128 v[16:19], v149 offset:3520
	ds_read_b128 v[68:71], v149 offset:19360
	;; [unrolled: 1-line block ×11, first 2 shown]
	v_add_nc_u32_e32 v115, 0xffffffbe, v100
	v_mul_lo_u16 v105, 0xf9, v105
	v_cmp_gt_u32_e64 s1, 0x42, v100
	v_mov_b32_e32 v126, 0x420
	v_mov_b32_e32 v114, 0
	;; [unrolled: 1-line block ×3, first 2 shown]
	v_lshrrev_b16 v116, 14, v105
	v_cndmask_b32_e64 v115, v115, v100, s1
	v_mul_u32_u24_e32 v143, 0x420, v113
	v_mul_u32_u24_e32 v144, 0x420, v120
	v_mul_u32_u24_sdwa v105, v112, v127 dst_sel:DWORD dst_unused:UNUSED_PAD src0_sel:WORD_0 src1_sel:DWORD
	v_mul_lo_u16 v120, 0x42, v116
	v_lshlrev_b32_e32 v113, 2, v115
	v_mul_u32_u24_e32 v145, 0x420, v124
	v_mul_u32_u24_sdwa v146, v117, v126 dst_sel:DWORD dst_unused:UNUSED_PAD src0_sel:WORD_0 src1_sel:DWORD
	v_lshlrev_b32_sdwa v147, v101, v122 dst_sel:DWORD dst_unused:UNUSED_PAD src0_sel:DWORD src1_sel:WORD_0
	v_lshlrev_b32_sdwa v148, v101, v123 dst_sel:DWORD dst_unused:UNUSED_PAD src0_sel:DWORD src1_sel:WORD_0
	;; [unrolled: 1-line block ×3, first 2 shown]
	v_lshlrev_b64 v[122:123], 4, v[113:114]
	v_sub_nc_u16 v117, v104, v120
	v_mul_u32_u24_sdwa v113, v121, v126 dst_sel:DWORD dst_unused:UNUSED_PAD src0_sel:WORD_0 src1_sel:DWORD
	s_mov_b32 s4, 0xe8584caa
	s_mov_b32 s5, 0x3febb67a
	;; [unrolled: 1-line block ×4, first 2 shown]
	v_lshlrev_b32_sdwa v119, v101, v119 dst_sel:DWORD dst_unused:UNUSED_PAD src0_sel:DWORD src1_sel:BYTE_0
	v_lshlrev_b32_sdwa v118, v101, v118 dst_sel:DWORD dst_unused:UNUSED_PAD src0_sel:DWORD src1_sel:BYTE_0
	v_lshrrev_b32_e32 v105, 22, v105
	v_mov_b32_e32 v142, 6
	v_add3_u32 v143, 0, v143, v147
	v_add3_u32 v144, 0, v144, v148
	s_waitcnt vmcnt(0) lgkmcnt(0)
	s_barrier
	buffer_gl0_inv
	s_mov_b32 s12, 0x134454ff
	s_mov_b32 s13, 0x3fee6f0e
	;; [unrolled: 1-line block ×5, first 2 shown]
	v_mul_f64 v[120:121], v[94:95], v[34:35]
	v_mul_f64 v[34:35], v[92:93], v[34:35]
	;; [unrolled: 1-line block ×20, first 2 shown]
	v_fma_f64 v[92:93], v[92:93], v[32:33], -v[120:121]
	v_fma_f64 v[32:33], v[94:95], v[32:33], v[34:35]
	v_fma_f64 v[34:35], v[80:81], v[28:29], -v[124:125]
	v_fma_f64 v[28:29], v[82:83], v[28:29], v[30:31]
	;; [unrolled: 2-line block ×5, first 2 shown]
	v_fma_f64 v[62:63], v[68:69], v[20:21], -v[134:135]
	v_fma_f64 v[64:65], v[64:65], v[52:53], -v[136:137]
	;; [unrolled: 1-line block ×3, first 2 shown]
	v_fma_f64 v[52:53], v[66:67], v[52:53], v[54:55]
	v_fma_f64 v[48:49], v[78:79], v[48:49], v[50:51]
	v_fma_f64 v[56:57], v[56:57], v[24:25], -v[132:133]
	v_fma_f64 v[24:25], v[58:59], v[24:25], v[26:27]
	v_fma_f64 v[20:21], v[70:71], v[20:21], v[22:23]
	v_fma_f64 v[50:51], v[72:73], v[44:45], -v[140:141]
	v_fma_f64 v[22:23], v[74:75], v[44:45], v[46:47]
	v_add3_u32 v120, 0, v145, v150
	v_add_f64 v[26:27], v[16:17], v[92:93]
	v_add_f64 v[54:55], v[18:19], v[32:33]
	;; [unrolled: 1-line block ×3, first 2 shown]
	v_add_f64 v[46:47], v[32:33], -v[28:29]
	v_add_f64 v[66:67], v[12:13], v[30:31]
	v_add_f64 v[32:33], v[32:33], v[28:29]
	;; [unrolled: 1-line block ×3, first 2 shown]
	v_add_f64 v[80:81], v[30:31], -v[42:43]
	v_add_f64 v[72:73], v[40:41], -v[36:37]
	v_add_f64 v[74:75], v[14:15], v[40:41]
	v_add_f64 v[40:41], v[40:41], v[36:37]
	;; [unrolled: 1-line block ×10, first 2 shown]
	v_add_f64 v[88:89], v[60:61], -v[22:23]
	v_add_f64 v[60:61], v[60:61], v[22:23]
	v_add_f64 v[58:59], v[92:93], -v[34:35]
	v_add_f64 v[82:83], v[4:5], v[38:39]
	v_add_f64 v[92:93], v[38:39], -v[50:51]
	v_add_f64 v[38:39], v[0:1], v[56:57]
	v_add_f64 v[52:53], v[52:53], -v[48:49]
	v_add_f64 v[64:65], v[64:65], -v[68:69]
	;; [unrolled: 1-line block ×3, first 2 shown]
	v_add_f64 v[24:25], v[2:3], v[24:25]
	v_add_f64 v[56:57], v[56:57], -v[62:63]
	v_fma_f64 v[32:33], v[32:33], -0.5, v[18:19]
	v_fma_f64 v[44:45], v[44:45], -0.5, v[16:17]
	;; [unrolled: 1-line block ×4, first 2 shown]
	v_add_f64 v[16:17], v[96:97], v[68:69]
	v_fma_f64 v[30:31], v[30:31], -0.5, v[10:11]
	v_fma_f64 v[76:77], v[76:77], -0.5, v[0:1]
	v_add_f64 v[10:11], v[54:55], v[28:29]
	v_fma_f64 v[54:55], v[86:87], -0.5, v[2:3]
	v_add_f64 v[0:1], v[66:67], v[42:43]
	;; [unrolled: 2-line block ×3, first 2 shown]
	v_fma_f64 v[74:75], v[84:85], -0.5, v[4:5]
	v_fma_f64 v[60:61], v[60:61], -0.5, v[6:7]
	v_add_f64 v[18:19], v[98:99], v[48:49]
	v_add_f64 v[4:5], v[38:39], v[62:63]
	;; [unrolled: 1-line block ×6, first 2 shown]
	v_add3_u32 v62, 0, v113, v119
	v_fma_f64 v[22:23], v[58:59], s[6:7], v[32:33]
	v_fma_f64 v[26:27], v[58:59], s[4:5], v[32:33]
	;; [unrolled: 1-line block ×20, first 2 shown]
	v_add_co_u32 v60, s1, s8, v122
	v_add3_u32 v63, 0, v146, v118
	v_add_co_ci_u32_e64 v61, s1, s9, v123, s1
	ds_write_b128 v62, v[16:19]
	ds_write_b128 v62, v[36:39] offset:352
	ds_write_b128 v62, v[40:43] offset:704
	ds_write_b128 v63, v[4:7]
	ds_write_b128 v63, v[32:35] offset:352
	ds_write_b128 v63, v[44:47] offset:704
	;; [unrolled: 3-line block ×5, first 2 shown]
	v_mul_lo_u16 v0, 0x42, v105
	s_waitcnt lgkmcnt(0)
	s_barrier
	buffer_gl0_inv
	s_clause 0x1
	global_load_dwordx4 v[28:31], v[60:61], off offset:880
	global_load_dwordx4 v[24:27], v[60:61], off offset:896
	v_lshlrev_b32_sdwa v1, v142, v117 dst_sel:DWORD dst_unused:UNUSED_PAD src0_sel:DWORD src1_sel:BYTE_0
	s_clause 0x1
	global_load_dwordx4 v[20:23], v[60:61], off offset:912
	global_load_dwordx4 v[12:15], v[60:61], off offset:928
	v_sub_nc_u16 v48, v112, v0
	s_clause 0x1
	global_load_dwordx4 v[16:19], v1, s[8:9] offset:880
	global_load_dwordx4 v[8:11], v1, s[8:9] offset:896
	v_mov_b32_e32 v49, 0x14a0
	v_lshlrev_b32_sdwa v32, v142, v48 dst_sel:DWORD dst_unused:UNUSED_PAD src0_sel:DWORD src1_sel:WORD_0
	s_clause 0x5
	global_load_dwordx4 v[4:7], v1, s[8:9] offset:912
	global_load_dwordx4 v[0:3], v1, s[8:9] offset:928
	;; [unrolled: 1-line block ×6, first 2 shown]
	v_lshlrev_b32_e32 v113, 2, v100
	v_mul_u32_u24_sdwa v53, v116, v49 dst_sel:DWORD dst_unused:UNUSED_PAD src0_sel:WORD_0 src1_sel:DWORD
	v_cmp_lt_u32_e64 s1, 0x41, v100
	v_lshlrev_b32_e32 v52, 4, v115
	v_lshlrev_b32_sdwa v54, v101, v117 dst_sel:DWORD dst_unused:UNUSED_PAD src0_sel:DWORD src1_sel:BYTE_0
	v_lshlrev_b64 v[49:50], 4, v[113:114]
	v_lshlrev_b32_e32 v113, 2, v104
	v_cndmask_b32_e64 v51, 0, 0x14a0, s1
	v_mul_u32_u24_e32 v55, 0x14a0, v105
	v_lshlrev_b32_sdwa v48, v101, v48 dst_sel:DWORD dst_unused:UNUSED_PAD src0_sel:DWORD src1_sel:WORD_0
	v_add3_u32 v105, 0, v53, v54
	v_add_co_u32 v49, s1, s8, v49
	v_add_co_ci_u32_e64 v50, s1, s9, v50, s1
	v_add3_u32 v182, 0, v51, v52
	v_lshlrev_b64 v[51:52], 4, v[113:114]
	v_add_co_u32 v117, s1, 0x13f0, v49
	v_add_co_ci_u32_e64 v118, s1, 0, v50, s1
	v_add_co_u32 v119, s1, 0x1000, v49
	v_add_co_ci_u32_e64 v120, s1, 0, v50, s1
	v_add_co_u32 v76, s1, s8, v51
	v_add3_u32 v101, 0, v55, v48
	v_add_co_ci_u32_e64 v77, s1, s9, v52, s1
	ds_read_b128 v[48:51], v149 offset:5280
	ds_read_b128 v[52:55], v149 offset:10560
	;; [unrolled: 1-line block ×7, first 2 shown]
	v_add_co_u32 v121, s1, 0x13f0, v76
	v_add_co_ci_u32_e64 v122, s1, 0, v77, s1
	v_add_co_u32 v123, s1, 0x1000, v76
	v_add_co_ci_u32_e64 v124, s1, 0, v77, s1
	ds_read_b128 v[76:79], v149 offset:22880
	ds_read_b128 v[80:83], v107
	ds_read_b128 v[84:87], v149 offset:8800
	ds_read_b128 v[88:91], v149 offset:14080
	;; [unrolled: 1-line block ×4, first 2 shown]
	s_mov_b32 s6, 0x4755a5e
	s_mov_b32 s7, 0x3fe2cf23
	;; [unrolled: 1-line block ×5, first 2 shown]
	v_lshlrev_b32_e32 v113, 2, v112
	v_lshlrev_b64 v[115:116], 4, v[113:114]
	s_waitcnt vmcnt(11) lgkmcnt(12)
	v_mul_f64 v[125:126], v[50:51], v[30:31]
	v_mul_f64 v[30:31], v[48:49], v[30:31]
	s_waitcnt vmcnt(10) lgkmcnt(11)
	v_mul_f64 v[127:128], v[54:55], v[26:27]
	v_mul_f64 v[26:27], v[52:53], v[26:27]
	;; [unrolled: 3-line block ×12, first 2 shown]
	v_fma_f64 v[48:49], v[48:49], v[28:29], -v[125:126]
	v_fma_f64 v[28:29], v[50:51], v[28:29], v[30:31]
	v_fma_f64 v[30:31], v[52:53], v[24:25], -v[127:128]
	v_fma_f64 v[26:27], v[54:55], v[24:25], v[26:27]
	;; [unrolled: 2-line block ×3, first 2 shown]
	v_fma_f64 v[52:53], v[58:59], v[20:21], v[131:132]
	v_fma_f64 v[12:13], v[60:61], v[12:13], -v[133:134]
	ds_read_b128 v[22:25], v149
	ds_read_b128 v[18:21], v149 offset:3520
	v_fma_f64 v[54:55], v[64:65], v[16:17], -v[135:136]
	v_fma_f64 v[16:17], v[66:67], v[16:17], v[137:138]
	v_fma_f64 v[56:57], v[68:69], v[8:9], -v[139:140]
	v_fma_f64 v[8:9], v[70:71], v[8:9], v[10:11]
	;; [unrolled: 2-line block ×8, first 2 shown]
	v_add_f64 v[46:47], v[30:31], v[50:51]
	v_add_f64 v[64:65], v[48:49], -v[30:31]
	s_waitcnt lgkmcnt(1)
	v_add_f64 v[34:35], v[22:23], v[48:49]
	v_add_f64 v[66:67], v[12:13], -v[50:51]
	v_add_f64 v[74:75], v[24:25], v[28:29]
	v_add_f64 v[76:77], v[26:27], v[52:53]
	;; [unrolled: 1-line block ×4, first 2 shown]
	v_add_f64 v[70:71], v[30:31], -v[48:49]
	v_add_f64 v[72:73], v[50:51], -v[12:13]
	v_add_f64 v[92:93], v[80:81], v[54:55]
	v_add_f64 v[94:95], v[56:57], v[10:11]
	;; [unrolled: 1-line block ×6, first 2 shown]
	v_add_f64 v[84:85], v[28:29], -v[26:27]
	v_add_f64 v[86:87], v[14:15], -v[52:53]
	;; [unrolled: 1-line block ×6, first 2 shown]
	s_waitcnt lgkmcnt(0)
	v_add_f64 v[150:151], v[18:19], v[0:1]
	v_add_f64 v[152:153], v[44:45], v[42:43]
	;; [unrolled: 1-line block ×4, first 2 shown]
	v_add_f64 v[158:159], v[0:1], -v[44:45]
	v_add_f64 v[162:163], v[0:1], v[38:39]
	v_add_f64 v[164:165], v[44:45], -v[0:1]
	v_add_f64 v[172:173], v[0:1], -v[38:39]
	;; [unrolled: 1-line block ×4, first 2 shown]
	v_add_f64 v[178:179], v[2:3], v[32:33]
	v_add_f64 v[60:61], v[28:29], -v[14:15]
	v_add_f64 v[62:63], v[26:27], -v[52:53]
	;; [unrolled: 1-line block ×10, first 2 shown]
	v_add_f64 v[30:31], v[34:35], v[30:31]
	v_fma_f64 v[34:35], v[46:47], -0.5, v[22:23]
	v_add_f64 v[46:47], v[64:65], v[66:67]
	v_add_f64 v[26:27], v[74:75], v[26:27]
	v_fma_f64 v[66:67], v[76:77], -0.5, v[24:25]
	v_fma_f64 v[22:23], v[68:69], -0.5, v[22:23]
	;; [unrolled: 1-line block ×3, first 2 shown]
	v_add_f64 v[98:99], v[8:9], -v[4:5]
	v_add_f64 v[131:132], v[56:57], -v[54:55]
	;; [unrolled: 1-line block ×4, first 2 shown]
	v_add_f64 v[64:65], v[70:71], v[72:73]
	v_add_f64 v[56:57], v[92:93], v[56:57]
	v_fma_f64 v[70:71], v[94:95], -0.5, v[80:81]
	v_fma_f64 v[74:75], v[129:130], -0.5, v[80:81]
	v_add_f64 v[8:9], v[135:136], v[8:9]
	v_fma_f64 v[80:81], v[137:138], -0.5, v[82:83]
	v_add_f64 v[133:134], v[10:11], -v[6:7]
	v_fma_f64 v[82:83], v[145:146], -0.5, v[82:83]
	v_add_f64 v[156:157], v[40:41], -v[36:37]
	v_add_f64 v[174:175], v[44:45], -v[42:43]
	v_add_f64 v[68:69], v[84:85], v[86:87]
	v_add_f64 v[86:87], v[16:17], v[147:148]
	;; [unrolled: 1-line block ×3, first 2 shown]
	v_fma_f64 v[44:45], v[152:153], -0.5, v[18:19]
	v_add_f64 v[40:41], v[168:169], v[40:41]
	v_fma_f64 v[92:93], v[170:171], -0.5, v[20:21]
	v_fma_f64 v[18:19], v[162:163], -0.5, v[18:19]
	v_add_f64 v[94:95], v[0:1], v[176:177]
	v_fma_f64 v[0:1], v[178:179], -0.5, v[20:21]
	v_add_f64 v[72:73], v[125:126], v[127:128]
	v_add_f64 v[125:126], v[2:3], v[180:181]
	;; [unrolled: 1-line block ×3, first 2 shown]
	v_fma_f64 v[20:21], v[60:61], s[12:13], v[34:35]
	v_add_f64 v[26:27], v[26:27], v[52:53]
	v_fma_f64 v[50:51], v[48:49], s[14:15], v[66:67]
	v_add_f64 v[90:91], v[52:53], -v[14:15]
	v_fma_f64 v[30:31], v[60:61], s[14:15], v[34:35]
	v_fma_f64 v[34:35], v[62:63], s[14:15], v[22:23]
	;; [unrolled: 1-line block ×6, first 2 shown]
	v_add_f64 v[143:144], v[58:59], -v[4:5]
	v_add_f64 v[10:11], v[56:57], v[10:11]
	v_fma_f64 v[56:57], v[96:97], s[12:13], v[70:71]
	v_add_f64 v[8:9], v[8:9], v[4:5]
	v_fma_f64 v[129:130], v[54:55], s[14:15], v[80:81]
	;; [unrolled: 2-line block ×3, first 2 shown]
	v_fma_f64 v[131:132], v[139:140], s[12:13], v[82:83]
	v_fma_f64 v[74:75], v[98:99], s[12:13], v[74:75]
	;; [unrolled: 1-line block ×5, first 2 shown]
	v_add_f64 v[160:161], v[38:39], -v[42:43]
	v_add_f64 v[166:167], v[42:43], -v[38:39]
	v_add_f64 v[16:17], v[16:17], v[42:43]
	v_fma_f64 v[42:43], v[154:155], s[12:13], v[44:45]
	v_add_f64 v[36:37], v[40:41], v[36:37]
	v_fma_f64 v[40:41], v[172:173], s[14:15], v[92:93]
	v_fma_f64 v[133:134], v[156:157], s[14:15], v[18:19]
	;; [unrolled: 1-line block ×7, first 2 shown]
	v_add_f64 v[0:1], v[2:3], v[12:13]
	v_fma_f64 v[12:13], v[62:63], s[6:7], v[20:21]
	v_add_f64 v[2:3], v[26:27], v[14:15]
	v_fma_f64 v[14:15], v[78:79], s[10:11], v[50:51]
	;; [unrolled: 2-line block ×3, first 2 shown]
	v_fma_f64 v[30:31], v[60:61], s[6:7], v[34:35]
	v_fma_f64 v[22:23], v[60:61], s[10:11], v[22:23]
	;; [unrolled: 1-line block ×5, first 2 shown]
	v_add_f64 v[84:85], v[141:142], v[143:144]
	v_add_f64 v[4:5], v[10:11], v[6:7]
	v_fma_f64 v[50:51], v[98:99], s[6:7], v[56:57]
	v_add_f64 v[6:7], v[8:9], v[58:59]
	v_fma_f64 v[58:59], v[139:140], s[10:11], v[129:130]
	v_fma_f64 v[56:57], v[96:97], s[6:7], v[127:128]
	;; [unrolled: 1-line block ×7, first 2 shown]
	v_add_f64 v[88:89], v[158:159], v[160:161]
	v_fma_f64 v[70:71], v[156:157], s[6:7], v[42:43]
	v_fma_f64 v[82:83], v[174:175], s[10:11], v[40:41]
	v_add_f64 v[90:91], v[164:165], v[166:167]
	v_fma_f64 v[78:79], v[154:155], s[6:7], v[133:134]
	v_fma_f64 v[96:97], v[172:173], s[10:11], v[135:136]
	v_fma_f64 v[80:81], v[154:155], s[10:11], v[18:19]
	v_fma_f64 v[98:99], v[172:173], s[6:7], v[137:138]
	v_fma_f64 v[74:75], v[156:157], s[10:11], v[44:45]
	v_fma_f64 v[92:93], v[174:175], s[6:7], v[92:93]
	v_fma_f64 v[12:13], v[46:47], s[4:5], v[12:13]
	v_fma_f64 v[14:15], v[68:69], s[4:5], v[14:15]
	v_add_f64 v[8:9], v[16:17], v[38:39]
	v_fma_f64 v[16:17], v[46:47], s[4:5], v[20:21]
	v_fma_f64 v[20:21], v[64:65], s[4:5], v[30:31]
	v_fma_f64 v[24:25], v[64:65], s[4:5], v[22:23]
	v_fma_f64 v[22:23], v[28:29], s[4:5], v[34:35]
	v_fma_f64 v[18:19], v[68:69], s[4:5], v[26:27]
	v_fma_f64 v[26:27], v[28:29], s[4:5], v[48:49]
	;; [unrolled: 9-line block ×3, first 2 shown]
	v_fma_f64 v[44:45], v[88:89], s[4:5], v[70:71]
	v_fma_f64 v[46:47], v[94:95], s[4:5], v[82:83]
	;; [unrolled: 1-line block ×8, first 2 shown]
	v_add_co_u32 v60, s1, s8, v115
	v_add_co_ci_u32_e64 v61, s1, s9, v116, s1
	s_barrier
	buffer_gl0_inv
	ds_write_b128 v182, v[0:3]
	ds_write_b128 v182, v[12:15] offset:1056
	ds_write_b128 v182, v[20:23] offset:2112
	ds_write_b128 v182, v[24:27] offset:3168
	ds_write_b128 v182, v[16:19] offset:4224
	ds_write_b128 v105, v[4:7]
	ds_write_b128 v105, v[28:31] offset:1056
	ds_write_b128 v105, v[36:39] offset:2112
	ds_write_b128 v105, v[40:43] offset:3168
	ds_write_b128 v105, v[32:35] offset:4224
	;; [unrolled: 5-line block ×3, first 2 shown]
	s_waitcnt lgkmcnt(0)
	s_barrier
	buffer_gl0_inv
	s_clause 0x2
	global_load_dwordx4 v[0:3], v[119:120], off offset:1008
	global_load_dwordx4 v[4:7], v[117:118], off offset:32
	;; [unrolled: 1-line block ×3, first 2 shown]
	v_add_co_u32 v32, s1, 0x1000, v60
	v_add_co_ci_u32_e64 v33, s1, 0, v61, s1
	s_clause 0x3
	global_load_dwordx4 v[12:15], v[117:118], off offset:48
	global_load_dwordx4 v[16:19], v[123:124], off offset:1008
	;; [unrolled: 1-line block ×4, first 2 shown]
	v_add_co_u32 v44, s1, 0x13f0, v60
	v_add_co_ci_u32_e64 v45, s1, 0, v61, s1
	s_clause 0x4
	global_load_dwordx4 v[28:31], v[121:122], off offset:48
	global_load_dwordx4 v[32:35], v[32:33], off offset:1008
	;; [unrolled: 1-line block ×5, first 2 shown]
	ds_read_b128 v[48:51], v149 offset:5280
	ds_read_b128 v[52:55], v149 offset:10560
	;; [unrolled: 1-line block ×8, first 2 shown]
	ds_read_b128 v[80:83], v107
	ds_read_b128 v[84:87], v149 offset:8800
	ds_read_b128 v[88:91], v149 offset:14080
	;; [unrolled: 1-line block ×4, first 2 shown]
	s_waitcnt vmcnt(11) lgkmcnt(12)
	v_mul_f64 v[115:116], v[50:51], v[2:3]
	v_mul_f64 v[2:3], v[48:49], v[2:3]
	s_waitcnt vmcnt(9) lgkmcnt(11)
	v_mul_f64 v[117:118], v[54:55], v[10:11]
	v_mul_f64 v[10:11], v[52:53], v[10:11]
	s_waitcnt lgkmcnt(10)
	v_mul_f64 v[119:120], v[58:59], v[6:7]
	v_mul_f64 v[6:7], v[56:57], v[6:7]
	s_waitcnt vmcnt(8) lgkmcnt(9)
	v_mul_f64 v[121:122], v[62:63], v[14:15]
	v_mul_f64 v[14:15], v[60:61], v[14:15]
	s_waitcnt vmcnt(7) lgkmcnt(8)
	;; [unrolled: 3-line block ×3, first 2 shown]
	v_mul_f64 v[125:126], v[70:71], v[26:27]
	v_mul_f64 v[26:27], v[68:69], v[26:27]
	s_waitcnt lgkmcnt(6)
	v_mul_f64 v[127:128], v[74:75], v[22:23]
	v_mul_f64 v[22:23], v[72:73], v[22:23]
	s_waitcnt vmcnt(4) lgkmcnt(5)
	v_mul_f64 v[129:130], v[78:79], v[30:31]
	v_mul_f64 v[30:31], v[76:77], v[30:31]
	s_waitcnt vmcnt(3) lgkmcnt(3)
	;; [unrolled: 3-line block ×5, first 2 shown]
	v_mul_f64 v[137:138], v[98:99], v[46:47]
	v_mul_f64 v[46:47], v[96:97], v[46:47]
	v_fma_f64 v[48:49], v[48:49], v[0:1], -v[115:116]
	v_fma_f64 v[50:51], v[50:51], v[0:1], v[2:3]
	v_fma_f64 v[52:53], v[52:53], v[8:9], -v[117:118]
	v_fma_f64 v[8:9], v[54:55], v[8:9], v[10:11]
	;; [unrolled: 2-line block ×3, first 2 shown]
	v_fma_f64 v[54:55], v[58:59], v[4:5], v[6:7]
	v_fma_f64 v[12:13], v[60:61], v[12:13], -v[121:122]
	ds_read_b128 v[0:3], v149
	ds_read_b128 v[4:7], v149 offset:3520
	v_fma_f64 v[56:57], v[64:65], v[16:17], -v[123:124]
	v_fma_f64 v[16:17], v[66:67], v[16:17], v[18:19]
	v_fma_f64 v[18:19], v[68:69], v[24:25], -v[125:126]
	v_fma_f64 v[24:25], v[70:71], v[24:25], v[26:27]
	;; [unrolled: 2-line block ×8, first 2 shown]
	v_add_f64 v[58:59], v[52:53], v[10:11]
	v_add_f64 v[64:65], v[48:49], -v[52:53]
	s_waitcnt lgkmcnt(1)
	v_add_f64 v[46:47], v[0:1], v[48:49]
	v_add_f64 v[66:67], v[12:13], -v[10:11]
	v_add_f64 v[74:75], v[2:3], v[50:51]
	v_add_f64 v[76:77], v[8:9], v[54:55]
	;; [unrolled: 1-line block ×4, first 2 shown]
	v_add_f64 v[70:71], v[52:53], -v[48:49]
	v_add_f64 v[72:73], v[10:11], -v[12:13]
	v_add_f64 v[92:93], v[80:81], v[56:57]
	v_add_f64 v[94:95], v[18:19], v[26:27]
	;; [unrolled: 1-line block ×6, first 2 shown]
	v_add_f64 v[84:85], v[50:51], -v[8:9]
	v_add_f64 v[86:87], v[14:15], -v[54:55]
	;; [unrolled: 1-line block ×6, first 2 shown]
	s_waitcnt lgkmcnt(0)
	v_add_f64 v[139:140], v[4:5], v[30:31]
	v_add_f64 v[141:142], v[34:35], v[38:39]
	;; [unrolled: 1-line block ×6, first 2 shown]
	v_add_f64 v[60:61], v[50:51], -v[14:15]
	v_add_f64 v[62:63], v[8:9], -v[54:55]
	;; [unrolled: 1-line block ×11, first 2 shown]
	v_add_f64 v[46:47], v[46:47], v[52:53]
	v_fma_f64 v[52:53], v[58:59], -0.5, v[0:1]
	v_add_f64 v[58:59], v[64:65], v[66:67]
	v_add_f64 v[8:9], v[74:75], v[8:9]
	v_fma_f64 v[66:67], v[76:77], -0.5, v[2:3]
	v_fma_f64 v[0:1], v[68:69], -0.5, v[0:1]
	;; [unrolled: 1-line block ×3, first 2 shown]
	v_add_f64 v[121:122], v[18:19], -v[56:57]
	v_add_f64 v[123:124], v[26:27], -v[22:23]
	;; [unrolled: 1-line block ×5, first 2 shown]
	v_add_f64 v[64:65], v[70:71], v[72:73]
	v_add_f64 v[18:19], v[92:93], v[18:19]
	v_fma_f64 v[70:71], v[94:95], -0.5, v[80:81]
	v_fma_f64 v[74:75], v[119:120], -0.5, v[80:81]
	v_add_f64 v[24:25], v[125:126], v[24:25]
	v_fma_f64 v[80:81], v[127:128], -0.5, v[82:83]
	v_fma_f64 v[82:83], v[135:136], -0.5, v[82:83]
	v_add_f64 v[145:146], v[36:37], -v[40:41]
	v_add_f64 v[147:148], v[30:31], -v[34:35]
	;; [unrolled: 1-line block ×5, first 2 shown]
	v_add_f64 v[68:69], v[84:85], v[86:87]
	v_add_f64 v[86:87], v[16:17], v[137:138]
	;; [unrolled: 1-line block ×3, first 2 shown]
	v_fma_f64 v[34:35], v[141:142], -0.5, v[4:5]
	v_add_f64 v[36:37], v[158:159], v[36:37]
	v_fma_f64 v[92:93], v[160:161], -0.5, v[6:7]
	v_add_f64 v[133:134], v[28:29], -v[20:21]
	v_fma_f64 v[4:5], v[152:153], -0.5, v[4:5]
	v_fma_f64 v[6:7], v[168:169], -0.5, v[6:7]
	v_add_f64 v[90:91], v[54:55], -v[14:15]
	v_add_f64 v[72:73], v[115:116], v[117:118]
	v_add_f64 v[115:116], v[32:33], v[170:171]
	;; [unrolled: 1-line block ×3, first 2 shown]
	v_fma_f64 v[32:33], v[60:61], s[12:13], v[52:53]
	v_add_f64 v[8:9], v[8:9], v[54:55]
	v_fma_f64 v[54:55], v[48:49], s[14:15], v[66:67]
	v_fma_f64 v[46:47], v[60:61], s[14:15], v[52:53]
	;; [unrolled: 1-line block ×5, first 2 shown]
	v_add_f64 v[76:77], v[121:122], v[123:124]
	v_fma_f64 v[121:122], v[78:79], s[14:15], v[2:3]
	v_fma_f64 v[66:67], v[48:49], s[12:13], v[66:67]
	v_add_f64 v[18:19], v[18:19], v[26:27]
	v_fma_f64 v[26:27], v[96:97], s[12:13], v[70:71]
	v_add_f64 v[20:21], v[24:25], v[20:21]
	v_fma_f64 v[24:25], v[56:57], s[14:15], v[80:81]
	v_fma_f64 v[70:71], v[96:97], s[14:15], v[70:71]
	;; [unrolled: 1-line block ×7, first 2 shown]
	v_add_f64 v[150:151], v[42:43], -v[38:39]
	v_add_f64 v[156:157], v[38:39], -v[42:43]
	;; [unrolled: 1-line block ×3, first 2 shown]
	v_add_f64 v[16:17], v[16:17], v[38:39]
	v_fma_f64 v[38:39], v[143:144], s[12:13], v[34:35]
	v_add_f64 v[36:37], v[36:37], v[40:41]
	v_fma_f64 v[40:41], v[30:31], s[14:15], v[92:93]
	;; [unrolled: 2-line block ×3, first 2 shown]
	v_fma_f64 v[133:134], v[162:163], s[12:13], v[6:7]
	v_fma_f64 v[131:132], v[145:146], s[12:13], v[4:5]
	;; [unrolled: 1-line block ×5, first 2 shown]
	v_add_f64 v[0:1], v[10:11], v[12:13]
	v_fma_f64 v[12:13], v[62:63], s[6:7], v[32:33]
	v_add_f64 v[2:3], v[8:9], v[14:15]
	v_fma_f64 v[14:15], v[78:79], s[10:11], v[54:55]
	;; [unrolled: 2-line block ×3, first 2 shown]
	v_fma_f64 v[46:47], v[60:61], s[6:7], v[52:53]
	v_fma_f64 v[52:53], v[60:61], s[10:11], v[117:118]
	;; [unrolled: 1-line block ×13, first 2 shown]
	v_add_f64 v[88:89], v[147:148], v[150:151]
	v_add_f64 v[94:95], v[164:165], v[166:167]
	v_fma_f64 v[82:83], v[145:146], s[6:7], v[38:39]
	v_fma_f64 v[121:122], v[162:163], s[10:11], v[40:41]
	v_add_f64 v[90:91], v[154:155], v[156:157]
	v_fma_f64 v[117:118], v[143:144], s[6:7], v[127:128]
	v_fma_f64 v[123:124], v[30:31], s[10:11], v[133:134]
	;; [unrolled: 1-line block ×8, first 2 shown]
	v_add_f64 v[4:5], v[18:19], v[22:23]
	v_add_f64 v[6:7], v[20:21], v[28:29]
	v_fma_f64 v[20:21], v[64:65], s[4:5], v[46:47]
	v_fma_f64 v[22:23], v[50:51], s[4:5], v[60:61]
	v_fma_f64 v[24:25], v[64:65], s[4:5], v[52:53]
	v_fma_f64 v[26:27], v[50:51], s[4:5], v[48:49]
	v_add_f64 v[8:9], v[16:17], v[42:43]
	v_fma_f64 v[16:17], v[58:59], s[4:5], v[32:33]
	v_fma_f64 v[18:19], v[68:69], s[4:5], v[54:55]
	v_fma_f64 v[28:29], v[72:73], s[4:5], v[62:63]
	v_fma_f64 v[30:31], v[84:85], s[4:5], v[78:79]
	;; [unrolled: 5-line block ×3, first 2 shown]
	v_fma_f64 v[32:33], v[72:73], s[4:5], v[66:67]
	v_fma_f64 v[34:35], v[84:85], s[4:5], v[80:81]
	;; [unrolled: 1-line block ×10, first 2 shown]
	s_barrier
	buffer_gl0_inv
	ds_write_b128 v149, v[0:3]
	ds_write_b128 v149, v[12:15] offset:5280
	ds_write_b128 v149, v[20:23] offset:10560
	;; [unrolled: 1-line block ×4, first 2 shown]
	ds_write_b128 v107, v[4:7]
	ds_write_b128 v107, v[28:31] offset:5280
	ds_write_b128 v107, v[36:39] offset:10560
	;; [unrolled: 1-line block ×9, first 2 shown]
	s_waitcnt lgkmcnt(0)
	s_barrier
	buffer_gl0_inv
	ds_read_b128 v[4:7], v149
	v_lshlrev_b32_e32 v0, 4, v100
	s_add_u32 s4, s8, 0x6670
	s_addc_u32 s5, s9, 0
	s_mov_b32 s6, exec_lo
                                        ; implicit-def: $vgpr2_vgpr3
                                        ; implicit-def: $vgpr8_vgpr9
	v_sub_nc_u32_e32 v10, 0, v0
	v_cmpx_ne_u32_e32 0, v100
	s_xor_b32 s6, exec_lo, s6
	s_cbranch_execz .LBB0_21
; %bb.20:
	v_mov_b32_e32 v101, v114
	v_lshlrev_b64 v[0:1], 4, v[100:101]
	v_add_co_u32 v0, s1, s4, v0
	v_add_co_ci_u32_e64 v1, s1, s5, v1, s1
	global_load_dwordx4 v[11:14], v[0:1], off
	ds_read_b128 v[0:3], v10 offset:26400
	s_waitcnt lgkmcnt(0)
	v_add_f64 v[8:9], v[4:5], -v[0:1]
	v_add_f64 v[15:16], v[6:7], v[2:3]
	v_add_f64 v[2:3], v[6:7], -v[2:3]
	v_add_f64 v[0:1], v[4:5], v[0:1]
	v_mul_f64 v[6:7], v[8:9], 0.5
	v_mul_f64 v[4:5], v[15:16], 0.5
	;; [unrolled: 1-line block ×3, first 2 shown]
	s_waitcnt vmcnt(0)
	v_mul_f64 v[8:9], v[6:7], v[13:14]
	v_fma_f64 v[15:16], v[4:5], v[13:14], v[2:3]
	v_fma_f64 v[2:3], v[4:5], v[13:14], -v[2:3]
	v_fma_f64 v[17:18], v[0:1], 0.5, v[8:9]
	v_fma_f64 v[0:1], v[0:1], 0.5, -v[8:9]
	v_fma_f64 v[8:9], -v[11:12], v[6:7], v[15:16]
	v_fma_f64 v[2:3], -v[11:12], v[6:7], v[2:3]
	v_fma_f64 v[13:14], v[4:5], v[11:12], v[17:18]
	v_fma_f64 v[0:1], -v[4:5], v[11:12], v[0:1]
                                        ; implicit-def: $vgpr4_vgpr5
	ds_write_b64 v149, v[13:14]
.LBB0_21:
	s_andn2_saveexec_b32 s1, s6
	s_cbranch_execz .LBB0_23
; %bb.22:
	v_mov_b32_e32 v15, 0
	s_waitcnt lgkmcnt(0)
	v_add_f64 v[13:14], v[4:5], v[6:7]
	v_add_f64 v[0:1], v[4:5], -v[6:7]
	v_mov_b32_e32 v8, 0
	v_mov_b32_e32 v9, 0
	ds_read_b64 v[11:12], v15 offset:13208
	v_mov_b32_e32 v2, v8
	v_mov_b32_e32 v3, v9
	s_waitcnt lgkmcnt(0)
	v_xor_b32_e32 v12, 0x80000000, v12
	ds_write_b64 v149, v[13:14]
	ds_write_b64 v15, v[11:12] offset:13208
.LBB0_23:
	s_or_b32 exec_lo, exec_lo, s1
	v_mov_b32_e32 v105, 0
	ds_write_b64 v149, v[8:9] offset:8
	ds_write_b128 v10, v[0:3] offset:26400
	s_waitcnt lgkmcnt(2)
	v_lshlrev_b64 v[4:5], 4, v[104:105]
	v_mov_b32_e32 v113, v105
	v_lshlrev_b64 v[11:12], 4, v[112:113]
	v_add_co_u32 v4, s1, s4, v4
	v_add_co_ci_u32_e64 v5, s1, s5, v5, s1
	v_mov_b32_e32 v112, v105
	v_add_co_u32 v11, s1, s4, v11
	global_load_dwordx4 v[4:7], v[4:5], off
	v_add_co_ci_u32_e64 v12, s1, s5, v12, s1
	v_lshlrev_b64 v[8:9], 4, v[111:112]
	v_mov_b32_e32 v111, v105
	global_load_dwordx4 v[11:14], v[11:12], off
	ds_read_b128 v[0:3], v107
	ds_read_b128 v[15:18], v10 offset:24640
	v_add_co_u32 v8, s1, s4, v8
	v_add_co_ci_u32_e64 v9, s1, s5, v9, s1
	global_load_dwordx4 v[19:22], v[8:9], off
	s_waitcnt lgkmcnt(0)
	v_add_f64 v[8:9], v[0:1], -v[15:16]
	v_add_f64 v[23:24], v[2:3], v[17:18]
	v_add_f64 v[2:3], v[2:3], -v[17:18]
	v_add_f64 v[0:1], v[0:1], v[15:16]
	v_mul_f64 v[8:9], v[8:9], 0.5
	v_mul_f64 v[17:18], v[23:24], 0.5
	v_mul_f64 v[2:3], v[2:3], 0.5
	s_waitcnt vmcnt(2)
	v_mul_f64 v[15:16], v[8:9], v[6:7]
	v_fma_f64 v[23:24], v[17:18], v[6:7], v[2:3]
	v_fma_f64 v[6:7], v[17:18], v[6:7], -v[2:3]
	v_fma_f64 v[25:26], v[0:1], 0.5, v[15:16]
	v_fma_f64 v[15:16], v[0:1], 0.5, -v[15:16]
	v_fma_f64 v[2:3], -v[4:5], v[8:9], v[23:24]
	v_fma_f64 v[6:7], -v[4:5], v[8:9], v[6:7]
	v_lshlrev_b64 v[8:9], 4, v[110:111]
	v_mov_b32_e32 v110, v105
	v_add_co_u32 v8, s1, s4, v8
	v_add_co_ci_u32_e64 v9, s1, s5, v9, s1
	v_fma_f64 v[0:1], v[17:18], v[4:5], v[25:26]
	v_fma_f64 v[4:5], -v[17:18], v[4:5], v[15:16]
	ds_write_b128 v107, v[0:3]
	ds_write_b128 v10, v[4:7] offset:24640
	ds_read_b128 v[0:3], v149 offset:3520
	ds_read_b128 v[4:7], v10 offset:22880
	global_load_dwordx4 v[15:18], v[8:9], off
	v_mov_b32_e32 v107, v105
	s_waitcnt lgkmcnt(0)
	v_add_f64 v[8:9], v[0:1], -v[4:5]
	v_add_f64 v[23:24], v[2:3], v[6:7]
	v_add_f64 v[2:3], v[2:3], -v[6:7]
	v_add_f64 v[0:1], v[0:1], v[4:5]
	v_mul_f64 v[6:7], v[8:9], 0.5
	v_mul_f64 v[8:9], v[23:24], 0.5
	;; [unrolled: 1-line block ×3, first 2 shown]
	s_waitcnt vmcnt(2)
	v_mul_f64 v[4:5], v[6:7], v[13:14]
	v_fma_f64 v[23:24], v[8:9], v[13:14], v[2:3]
	v_fma_f64 v[13:14], v[8:9], v[13:14], -v[2:3]
	v_fma_f64 v[25:26], v[0:1], 0.5, v[4:5]
	v_fma_f64 v[4:5], v[0:1], 0.5, -v[4:5]
	v_fma_f64 v[2:3], -v[11:12], v[6:7], v[23:24]
	v_fma_f64 v[6:7], -v[11:12], v[6:7], v[13:14]
	v_fma_f64 v[0:1], v[8:9], v[11:12], v[25:26]
	v_fma_f64 v[4:5], -v[8:9], v[11:12], v[4:5]
	v_lshlrev_b64 v[8:9], 4, v[109:110]
	ds_write_b128 v149, v[0:3] offset:3520
	ds_write_b128 v10, v[4:7] offset:22880
	v_add_co_u32 v8, s1, s4, v8
	ds_read_b128 v[0:3], v149 offset:5280
	ds_read_b128 v[4:7], v10 offset:21120
	v_add_co_ci_u32_e64 v9, s1, s5, v9, s1
	global_load_dwordx4 v[11:14], v[8:9], off
	s_waitcnt lgkmcnt(0)
	v_add_f64 v[8:9], v[0:1], -v[4:5]
	v_add_f64 v[23:24], v[2:3], v[6:7]
	v_add_f64 v[2:3], v[2:3], -v[6:7]
	v_add_f64 v[0:1], v[0:1], v[4:5]
	v_mul_f64 v[6:7], v[8:9], 0.5
	v_mul_f64 v[8:9], v[23:24], 0.5
	v_mul_f64 v[2:3], v[2:3], 0.5
	s_waitcnt vmcnt(2)
	v_mul_f64 v[4:5], v[6:7], v[21:22]
	v_fma_f64 v[23:24], v[8:9], v[21:22], v[2:3]
	v_fma_f64 v[21:22], v[8:9], v[21:22], -v[2:3]
	v_fma_f64 v[25:26], v[0:1], 0.5, v[4:5]
	v_fma_f64 v[4:5], v[0:1], 0.5, -v[4:5]
	v_fma_f64 v[2:3], -v[19:20], v[6:7], v[23:24]
	v_fma_f64 v[6:7], -v[19:20], v[6:7], v[21:22]
	v_fma_f64 v[0:1], v[8:9], v[19:20], v[25:26]
	v_fma_f64 v[4:5], -v[8:9], v[19:20], v[4:5]
	v_lshlrev_b64 v[8:9], 4, v[106:107]
	ds_write_b128 v149, v[0:3] offset:5280
	ds_write_b128 v10, v[4:7] offset:21120
	v_add_co_u32 v8, s1, s4, v8
	ds_read_b128 v[0:3], v149 offset:7040
	ds_read_b128 v[4:7], v10 offset:19360
	v_add_co_ci_u32_e64 v9, s1, s5, v9, s1
	global_load_dwordx4 v[19:22], v[8:9], off
	s_waitcnt lgkmcnt(0)
	v_add_f64 v[8:9], v[0:1], -v[4:5]
	v_add_f64 v[23:24], v[2:3], v[6:7]
	v_add_f64 v[2:3], v[2:3], -v[6:7]
	v_add_f64 v[0:1], v[0:1], v[4:5]
	v_mul_f64 v[6:7], v[8:9], 0.5
	v_mul_f64 v[8:9], v[23:24], 0.5
	;; [unrolled: 1-line block ×3, first 2 shown]
	s_waitcnt vmcnt(2)
	v_mul_f64 v[4:5], v[6:7], v[17:18]
	v_fma_f64 v[23:24], v[8:9], v[17:18], v[2:3]
	v_fma_f64 v[17:18], v[8:9], v[17:18], -v[2:3]
	v_fma_f64 v[25:26], v[0:1], 0.5, v[4:5]
	v_fma_f64 v[4:5], v[0:1], 0.5, -v[4:5]
	v_fma_f64 v[2:3], -v[15:16], v[6:7], v[23:24]
	v_fma_f64 v[6:7], -v[15:16], v[6:7], v[17:18]
	v_fma_f64 v[0:1], v[8:9], v[15:16], v[25:26]
	v_fma_f64 v[4:5], -v[8:9], v[15:16], v[4:5]
	ds_write_b128 v149, v[0:3] offset:7040
	ds_write_b128 v10, v[4:7] offset:19360
	ds_read_b128 v[0:3], v149 offset:8800
	ds_read_b128 v[4:7], v10 offset:17600
	s_waitcnt lgkmcnt(0)
	v_add_f64 v[8:9], v[0:1], -v[4:5]
	v_add_f64 v[15:16], v[2:3], v[6:7]
	v_add_f64 v[2:3], v[2:3], -v[6:7]
	v_add_f64 v[0:1], v[0:1], v[4:5]
	v_mul_f64 v[6:7], v[8:9], 0.5
	v_mul_f64 v[8:9], v[15:16], 0.5
	;; [unrolled: 1-line block ×3, first 2 shown]
	s_waitcnt vmcnt(1)
	v_mul_f64 v[4:5], v[6:7], v[13:14]
	v_fma_f64 v[15:16], v[8:9], v[13:14], v[2:3]
	v_fma_f64 v[13:14], v[8:9], v[13:14], -v[2:3]
	v_fma_f64 v[17:18], v[0:1], 0.5, v[4:5]
	v_fma_f64 v[4:5], v[0:1], 0.5, -v[4:5]
	v_fma_f64 v[2:3], -v[11:12], v[6:7], v[15:16]
	v_fma_f64 v[6:7], -v[11:12], v[6:7], v[13:14]
	v_fma_f64 v[0:1], v[8:9], v[11:12], v[17:18]
	v_fma_f64 v[4:5], -v[8:9], v[11:12], v[4:5]
	ds_write_b128 v149, v[0:3] offset:8800
	ds_write_b128 v10, v[4:7] offset:17600
	ds_read_b128 v[0:3], v149 offset:10560
	ds_read_b128 v[4:7], v10 offset:15840
	s_waitcnt lgkmcnt(0)
	v_add_f64 v[8:9], v[0:1], -v[4:5]
	v_add_f64 v[11:12], v[2:3], v[6:7]
	v_add_f64 v[2:3], v[2:3], -v[6:7]
	v_add_f64 v[0:1], v[0:1], v[4:5]
	v_mul_f64 v[6:7], v[8:9], 0.5
	v_mul_f64 v[8:9], v[11:12], 0.5
	;; [unrolled: 1-line block ×3, first 2 shown]
	s_waitcnt vmcnt(0)
	v_mul_f64 v[4:5], v[6:7], v[21:22]
	v_fma_f64 v[11:12], v[8:9], v[21:22], v[2:3]
	v_fma_f64 v[13:14], v[8:9], v[21:22], -v[2:3]
	v_fma_f64 v[15:16], v[0:1], 0.5, v[4:5]
	v_fma_f64 v[4:5], v[0:1], 0.5, -v[4:5]
	v_fma_f64 v[2:3], -v[19:20], v[6:7], v[11:12]
	v_fma_f64 v[6:7], -v[19:20], v[6:7], v[13:14]
	v_fma_f64 v[0:1], v[8:9], v[19:20], v[15:16]
	v_fma_f64 v[4:5], -v[8:9], v[19:20], v[4:5]
	ds_write_b128 v149, v[0:3] offset:10560
	ds_write_b128 v10, v[4:7] offset:15840
	s_and_saveexec_b32 s1, s0
	s_cbranch_execz .LBB0_25
; %bb.24:
	v_mov_b32_e32 v109, v105
	v_lshlrev_b64 v[0:1], 4, v[108:109]
	v_add_co_u32 v0, s0, s4, v0
	v_add_co_ci_u32_e64 v1, s0, s5, v1, s0
	global_load_dwordx4 v[0:3], v[0:1], off
	ds_read_b128 v[4:7], v149 offset:12320
	ds_read_b128 v[11:14], v10 offset:14080
	s_waitcnt lgkmcnt(0)
	v_add_f64 v[8:9], v[4:5], -v[11:12]
	v_add_f64 v[15:16], v[6:7], v[13:14]
	v_add_f64 v[6:7], v[6:7], -v[13:14]
	v_add_f64 v[4:5], v[4:5], v[11:12]
	v_mul_f64 v[8:9], v[8:9], 0.5
	v_mul_f64 v[13:14], v[15:16], 0.5
	;; [unrolled: 1-line block ×3, first 2 shown]
	s_waitcnt vmcnt(0)
	v_mul_f64 v[11:12], v[8:9], v[2:3]
	v_fma_f64 v[15:16], v[13:14], v[2:3], v[6:7]
	v_fma_f64 v[2:3], v[13:14], v[2:3], -v[6:7]
	v_fma_f64 v[6:7], v[4:5], 0.5, v[11:12]
	v_fma_f64 v[11:12], v[4:5], 0.5, -v[11:12]
	v_fma_f64 v[4:5], -v[0:1], v[8:9], v[15:16]
	v_fma_f64 v[8:9], -v[0:1], v[8:9], v[2:3]
	v_fma_f64 v[2:3], v[13:14], v[0:1], v[6:7]
	v_fma_f64 v[6:7], -v[13:14], v[0:1], v[11:12]
	ds_write_b128 v149, v[2:5] offset:12320
	ds_write_b128 v10, v[6:9] offset:14080
.LBB0_25:
	s_or_b32 exec_lo, exec_lo, s1
	s_waitcnt lgkmcnt(0)
	s_barrier
	buffer_gl0_inv
	s_and_saveexec_b32 s0, vcc_lo
	s_cbranch_execz .LBB0_28
; %bb.26:
	v_mov_b32_e32 v101, 0
	ds_read_b128 v[2:5], v149
	ds_read_b128 v[6:9], v149 offset:1760
	ds_read_b128 v[10:13], v149 offset:3520
	v_add_co_u32 v0, vcc_lo, s2, v102
	v_add_co_ci_u32_e32 v1, vcc_lo, s3, v103, vcc_lo
	v_lshlrev_b64 v[14:15], 4, v[100:101]
	v_add_co_u32 v30, vcc_lo, v0, v14
	v_add_co_ci_u32_e32 v31, vcc_lo, v1, v15, vcc_lo
	ds_read_b128 v[14:17], v149 offset:5280
	v_add_co_u32 v18, vcc_lo, 0x800, v30
	v_add_co_ci_u32_e32 v19, vcc_lo, 0, v31, vcc_lo
	s_waitcnt lgkmcnt(3)
	global_store_dwordx4 v[30:31], v[2:5], off
	s_waitcnt lgkmcnt(2)
	global_store_dwordx4 v[30:31], v[6:9], off offset:1760
	s_waitcnt lgkmcnt(1)
	global_store_dwordx4 v[18:19], v[10:13], off offset:1472
	ds_read_b128 v[2:5], v149 offset:7040
	ds_read_b128 v[6:9], v149 offset:8800
	;; [unrolled: 1-line block ×3, first 2 shown]
	v_add_co_u32 v32, vcc_lo, 0x1000, v30
	v_add_co_ci_u32_e32 v33, vcc_lo, 0, v31, vcc_lo
	v_add_co_u32 v34, vcc_lo, 0x1800, v30
	v_add_co_ci_u32_e32 v35, vcc_lo, 0, v31, vcc_lo
	v_add_co_u32 v36, vcc_lo, 0x2000, v30
	ds_read_b128 v[18:21], v149 offset:12320
	ds_read_b128 v[22:25], v149 offset:14080
	;; [unrolled: 1-line block ×3, first 2 shown]
	v_add_co_ci_u32_e32 v37, vcc_lo, 0, v31, vcc_lo
	s_waitcnt lgkmcnt(6)
	global_store_dwordx4 v[32:33], v[14:17], off offset:1184
	ds_read_b128 v[14:17], v149 offset:17600
	v_add_co_u32 v38, vcc_lo, 0x2800, v30
	v_add_co_ci_u32_e32 v39, vcc_lo, 0, v31, vcc_lo
	s_waitcnt lgkmcnt(6)
	global_store_dwordx4 v[34:35], v[2:5], off offset:896
	s_waitcnt lgkmcnt(5)
	global_store_dwordx4 v[36:37], v[6:9], off offset:608
	;; [unrolled: 2-line block ×3, first 2 shown]
	v_add_co_u32 v2, vcc_lo, 0x3000, v30
	v_add_co_ci_u32_e32 v3, vcc_lo, 0, v31, vcc_lo
	v_add_co_u32 v4, vcc_lo, 0x3800, v30
	v_add_co_ci_u32_e32 v5, vcc_lo, 0, v31, vcc_lo
	;; [unrolled: 2-line block ×3, first 2 shown]
	s_waitcnt lgkmcnt(3)
	global_store_dwordx4 v[2:3], v[18:21], off offset:32
	s_waitcnt lgkmcnt(2)
	global_store_dwordx4 v[2:3], v[22:25], off offset:1792
	s_waitcnt lgkmcnt(1)
	global_store_dwordx4 v[4:5], v[26:29], off offset:1504
	ds_read_b128 v[2:5], v149 offset:19360
	v_add_co_u32 v18, vcc_lo, 0x4800, v30
	s_waitcnt lgkmcnt(1)
	global_store_dwordx4 v[6:7], v[14:17], off offset:1216
	ds_read_b128 v[6:9], v149 offset:21120
	ds_read_b128 v[10:13], v149 offset:22880
	;; [unrolled: 1-line block ×3, first 2 shown]
	v_add_co_ci_u32_e32 v19, vcc_lo, 0, v31, vcc_lo
	v_add_co_u32 v20, vcc_lo, 0x5000, v30
	v_add_co_ci_u32_e32 v21, vcc_lo, 0, v31, vcc_lo
	v_add_co_u32 v22, vcc_lo, 0x5800, v30
	;; [unrolled: 2-line block ×3, first 2 shown]
	v_add_co_ci_u32_e32 v25, vcc_lo, 0, v31, vcc_lo
	v_cmp_eq_u32_e32 vcc_lo, 0x6d, v100
	s_waitcnt lgkmcnt(3)
	global_store_dwordx4 v[18:19], v[2:5], off offset:928
	s_waitcnt lgkmcnt(2)
	global_store_dwordx4 v[20:21], v[6:9], off offset:640
	;; [unrolled: 2-line block ×4, first 2 shown]
	s_and_b32 exec_lo, exec_lo, vcc_lo
	s_cbranch_execz .LBB0_28
; %bb.27:
	ds_read_b128 v[2:5], v101 offset:26400
	v_add_co_u32 v0, vcc_lo, 0x6000, v0
	v_add_co_ci_u32_e32 v1, vcc_lo, 0, v1, vcc_lo
	s_waitcnt lgkmcnt(0)
	global_store_dwordx4 v[0:1], v[2:5], off offset:1824
.LBB0_28:
	s_endpgm
	.section	.rodata,"a",@progbits
	.p2align	6, 0x0
	.amdhsa_kernel fft_rtc_fwd_len1650_factors_11_2_3_5_5_wgs_110_tpt_110_halfLds_dp_ip_CI_unitstride_sbrr_R2C_dirReg
		.amdhsa_group_segment_fixed_size 0
		.amdhsa_private_segment_fixed_size 0
		.amdhsa_kernarg_size 88
		.amdhsa_user_sgpr_count 6
		.amdhsa_user_sgpr_private_segment_buffer 1
		.amdhsa_user_sgpr_dispatch_ptr 0
		.amdhsa_user_sgpr_queue_ptr 0
		.amdhsa_user_sgpr_kernarg_segment_ptr 1
		.amdhsa_user_sgpr_dispatch_id 0
		.amdhsa_user_sgpr_flat_scratch_init 0
		.amdhsa_user_sgpr_private_segment_size 0
		.amdhsa_wavefront_size32 1
		.amdhsa_uses_dynamic_stack 0
		.amdhsa_system_sgpr_private_segment_wavefront_offset 0
		.amdhsa_system_sgpr_workgroup_id_x 1
		.amdhsa_system_sgpr_workgroup_id_y 0
		.amdhsa_system_sgpr_workgroup_id_z 0
		.amdhsa_system_sgpr_workgroup_info 0
		.amdhsa_system_vgpr_workitem_id 0
		.amdhsa_next_free_vgpr 200
		.amdhsa_next_free_sgpr 36
		.amdhsa_reserve_vcc 1
		.amdhsa_reserve_flat_scratch 0
		.amdhsa_float_round_mode_32 0
		.amdhsa_float_round_mode_16_64 0
		.amdhsa_float_denorm_mode_32 3
		.amdhsa_float_denorm_mode_16_64 3
		.amdhsa_dx10_clamp 1
		.amdhsa_ieee_mode 1
		.amdhsa_fp16_overflow 0
		.amdhsa_workgroup_processor_mode 1
		.amdhsa_memory_ordered 1
		.amdhsa_forward_progress 0
		.amdhsa_shared_vgpr_count 0
		.amdhsa_exception_fp_ieee_invalid_op 0
		.amdhsa_exception_fp_denorm_src 0
		.amdhsa_exception_fp_ieee_div_zero 0
		.amdhsa_exception_fp_ieee_overflow 0
		.amdhsa_exception_fp_ieee_underflow 0
		.amdhsa_exception_fp_ieee_inexact 0
		.amdhsa_exception_int_div_zero 0
	.end_amdhsa_kernel
	.text
.Lfunc_end0:
	.size	fft_rtc_fwd_len1650_factors_11_2_3_5_5_wgs_110_tpt_110_halfLds_dp_ip_CI_unitstride_sbrr_R2C_dirReg, .Lfunc_end0-fft_rtc_fwd_len1650_factors_11_2_3_5_5_wgs_110_tpt_110_halfLds_dp_ip_CI_unitstride_sbrr_R2C_dirReg
                                        ; -- End function
	.section	.AMDGPU.csdata,"",@progbits
; Kernel info:
; codeLenInByte = 17616
; NumSgprs: 38
; NumVgprs: 200
; ScratchSize: 0
; MemoryBound: 0
; FloatMode: 240
; IeeeMode: 1
; LDSByteSize: 0 bytes/workgroup (compile time only)
; SGPRBlocks: 4
; VGPRBlocks: 24
; NumSGPRsForWavesPerEU: 38
; NumVGPRsForWavesPerEU: 200
; Occupancy: 4
; WaveLimiterHint : 1
; COMPUTE_PGM_RSRC2:SCRATCH_EN: 0
; COMPUTE_PGM_RSRC2:USER_SGPR: 6
; COMPUTE_PGM_RSRC2:TRAP_HANDLER: 0
; COMPUTE_PGM_RSRC2:TGID_X_EN: 1
; COMPUTE_PGM_RSRC2:TGID_Y_EN: 0
; COMPUTE_PGM_RSRC2:TGID_Z_EN: 0
; COMPUTE_PGM_RSRC2:TIDIG_COMP_CNT: 0
	.text
	.p2alignl 6, 3214868480
	.fill 48, 4, 3214868480
	.type	__hip_cuid_79eeed1f9b4b9638,@object ; @__hip_cuid_79eeed1f9b4b9638
	.section	.bss,"aw",@nobits
	.globl	__hip_cuid_79eeed1f9b4b9638
__hip_cuid_79eeed1f9b4b9638:
	.byte	0                               ; 0x0
	.size	__hip_cuid_79eeed1f9b4b9638, 1

	.ident	"AMD clang version 19.0.0git (https://github.com/RadeonOpenCompute/llvm-project roc-6.4.0 25133 c7fe45cf4b819c5991fe208aaa96edf142730f1d)"
	.section	".note.GNU-stack","",@progbits
	.addrsig
	.addrsig_sym __hip_cuid_79eeed1f9b4b9638
	.amdgpu_metadata
---
amdhsa.kernels:
  - .args:
      - .actual_access:  read_only
        .address_space:  global
        .offset:         0
        .size:           8
        .value_kind:     global_buffer
      - .offset:         8
        .size:           8
        .value_kind:     by_value
      - .actual_access:  read_only
        .address_space:  global
        .offset:         16
        .size:           8
        .value_kind:     global_buffer
      - .actual_access:  read_only
        .address_space:  global
        .offset:         24
        .size:           8
        .value_kind:     global_buffer
      - .offset:         32
        .size:           8
        .value_kind:     by_value
      - .actual_access:  read_only
        .address_space:  global
        .offset:         40
        .size:           8
        .value_kind:     global_buffer
      - .actual_access:  read_only
        .address_space:  global
        .offset:         48
        .size:           8
        .value_kind:     global_buffer
      - .offset:         56
        .size:           4
        .value_kind:     by_value
      - .actual_access:  read_only
        .address_space:  global
        .offset:         64
        .size:           8
        .value_kind:     global_buffer
      - .actual_access:  read_only
        .address_space:  global
        .offset:         72
        .size:           8
        .value_kind:     global_buffer
      - .address_space:  global
        .offset:         80
        .size:           8
        .value_kind:     global_buffer
    .group_segment_fixed_size: 0
    .kernarg_segment_align: 8
    .kernarg_segment_size: 88
    .language:       OpenCL C
    .language_version:
      - 2
      - 0
    .max_flat_workgroup_size: 110
    .name:           fft_rtc_fwd_len1650_factors_11_2_3_5_5_wgs_110_tpt_110_halfLds_dp_ip_CI_unitstride_sbrr_R2C_dirReg
    .private_segment_fixed_size: 0
    .sgpr_count:     38
    .sgpr_spill_count: 0
    .symbol:         fft_rtc_fwd_len1650_factors_11_2_3_5_5_wgs_110_tpt_110_halfLds_dp_ip_CI_unitstride_sbrr_R2C_dirReg.kd
    .uniform_work_group_size: 1
    .uses_dynamic_stack: false
    .vgpr_count:     200
    .vgpr_spill_count: 0
    .wavefront_size: 32
    .workgroup_processor_mode: 1
amdhsa.target:   amdgcn-amd-amdhsa--gfx1030
amdhsa.version:
  - 1
  - 2
...

	.end_amdgpu_metadata
